;; amdgpu-corpus repo=ROCm/rocFFT kind=compiled arch=gfx950 opt=O3
	.text
	.amdgcn_target "amdgcn-amd-amdhsa--gfx950"
	.amdhsa_code_object_version 6
	.protected	fft_rtc_fwd_len1989_factors_17_13_9_wgs_153_tpt_153_halfLds_half_op_CI_CI_sbrr_dirReg ; -- Begin function fft_rtc_fwd_len1989_factors_17_13_9_wgs_153_tpt_153_halfLds_half_op_CI_CI_sbrr_dirReg
	.globl	fft_rtc_fwd_len1989_factors_17_13_9_wgs_153_tpt_153_halfLds_half_op_CI_CI_sbrr_dirReg
	.p2align	8
	.type	fft_rtc_fwd_len1989_factors_17_13_9_wgs_153_tpt_153_halfLds_half_op_CI_CI_sbrr_dirReg,@function
fft_rtc_fwd_len1989_factors_17_13_9_wgs_153_tpt_153_halfLds_half_op_CI_CI_sbrr_dirReg: ; @fft_rtc_fwd_len1989_factors_17_13_9_wgs_153_tpt_153_halfLds_half_op_CI_CI_sbrr_dirReg
; %bb.0:
	s_load_dwordx4 s[12:15], s[0:1], 0x18
	s_load_dwordx4 s[4:7], s[0:1], 0x0
	;; [unrolled: 1-line block ×3, first 2 shown]
	v_mul_u32_u24_e32 v1, 0x1ad, v0
	v_add_u32_sdwa v10, s2, v1 dst_sel:DWORD dst_unused:UNUSED_PAD src0_sel:DWORD src1_sel:WORD_1
	s_waitcnt lgkmcnt(0)
	s_load_dwordx2 s[18:19], s[12:13], 0x0
	s_load_dwordx2 s[16:17], s[14:15], 0x0
	v_mov_b32_e32 v8, 0
	v_cmp_lt_u64_e64 s[2:3], s[6:7], 2
	v_mov_b32_e32 v11, v8
	s_and_b64 vcc, exec, s[2:3]
	v_mov_b64_e32 v[6:7], 0
	s_cbranch_vccnz .LBB0_8
; %bb.1:
	s_load_dwordx2 s[2:3], s[0:1], 0x10
	s_add_u32 s20, s14, 8
	s_addc_u32 s21, s15, 0
	s_add_u32 s22, s12, 8
	s_addc_u32 s23, s13, 0
	s_waitcnt lgkmcnt(0)
	s_add_u32 s24, s2, 8
	v_mov_b64_e32 v[6:7], 0
	s_addc_u32 s25, s3, 0
	s_mov_b64 s[26:27], 1
	v_mov_b64_e32 v[2:3], v[6:7]
.LBB0_2:                                ; =>This Inner Loop Header: Depth=1
	s_load_dwordx2 s[28:29], s[24:25], 0x0
                                        ; implicit-def: $vgpr4_vgpr5
	s_waitcnt lgkmcnt(0)
	v_or_b32_e32 v9, s29, v11
	v_cmp_ne_u64_e32 vcc, 0, v[8:9]
	s_and_saveexec_b64 s[2:3], vcc
	s_xor_b64 s[30:31], exec, s[2:3]
	s_cbranch_execz .LBB0_4
; %bb.3:                                ;   in Loop: Header=BB0_2 Depth=1
	v_cvt_f32_u32_e32 v1, s28
	v_cvt_f32_u32_e32 v4, s29
	s_sub_u32 s2, 0, s28
	s_subb_u32 s3, 0, s29
	v_fmac_f32_e32 v1, 0x4f800000, v4
	v_rcp_f32_e32 v1, v1
	s_nop 0
	v_mul_f32_e32 v1, 0x5f7ffffc, v1
	v_mul_f32_e32 v4, 0x2f800000, v1
	v_trunc_f32_e32 v4, v4
	v_fmac_f32_e32 v1, 0xcf800000, v4
	v_cvt_u32_f32_e32 v9, v4
	v_cvt_u32_f32_e32 v1, v1
	v_mul_lo_u32 v4, s2, v9
	v_mul_hi_u32 v12, s2, v1
	v_mul_lo_u32 v5, s3, v1
	v_add_u32_e32 v12, v12, v4
	v_mul_lo_u32 v14, s2, v1
	v_add_u32_e32 v15, v12, v5
	v_mul_hi_u32 v4, v1, v14
	v_mul_hi_u32 v13, v1, v15
	v_mul_lo_u32 v12, v1, v15
	v_mov_b32_e32 v5, v8
	v_lshl_add_u64 v[4:5], v[4:5], 0, v[12:13]
	v_mul_hi_u32 v13, v9, v14
	v_mul_lo_u32 v14, v9, v14
	v_add_co_u32_e32 v4, vcc, v4, v14
	v_mul_hi_u32 v12, v9, v15
	s_nop 0
	v_addc_co_u32_e32 v4, vcc, v5, v13, vcc
	v_mov_b32_e32 v5, v8
	s_nop 0
	v_addc_co_u32_e32 v13, vcc, 0, v12, vcc
	v_mul_lo_u32 v12, v9, v15
	v_lshl_add_u64 v[4:5], v[4:5], 0, v[12:13]
	v_add_co_u32_e32 v1, vcc, v1, v4
	v_mul_lo_u32 v12, s2, v1
	s_nop 0
	v_addc_co_u32_e32 v9, vcc, v9, v5, vcc
	v_mul_lo_u32 v4, s2, v9
	v_mul_hi_u32 v5, s2, v1
	v_add_u32_e32 v4, v5, v4
	v_mul_lo_u32 v5, s3, v1
	v_add_u32_e32 v14, v4, v5
	v_mul_hi_u32 v16, v9, v12
	v_mul_lo_u32 v17, v9, v12
	v_mul_hi_u32 v5, v1, v14
	v_mul_lo_u32 v4, v1, v14
	v_mul_hi_u32 v12, v1, v12
	v_mov_b32_e32 v13, v8
	v_lshl_add_u64 v[4:5], v[12:13], 0, v[4:5]
	v_add_co_u32_e32 v4, vcc, v4, v17
	v_mul_hi_u32 v15, v9, v14
	s_nop 0
	v_addc_co_u32_e32 v4, vcc, v5, v16, vcc
	v_mul_lo_u32 v12, v9, v14
	s_nop 0
	v_addc_co_u32_e32 v13, vcc, 0, v15, vcc
	v_mov_b32_e32 v5, v8
	v_lshl_add_u64 v[4:5], v[4:5], 0, v[12:13]
	v_add_co_u32_e32 v1, vcc, v1, v4
	v_mul_hi_u32 v12, v10, v1
	s_nop 0
	v_addc_co_u32_e32 v9, vcc, v9, v5, vcc
	v_mad_u64_u32 v[4:5], s[2:3], v10, v9, 0
	v_mov_b32_e32 v13, v8
	v_lshl_add_u64 v[4:5], v[12:13], 0, v[4:5]
	v_mad_u64_u32 v[14:15], s[2:3], v11, v1, 0
	v_add_co_u32_e32 v1, vcc, v4, v14
	v_mad_u64_u32 v[12:13], s[2:3], v11, v9, 0
	s_nop 0
	v_addc_co_u32_e32 v4, vcc, v5, v15, vcc
	v_mov_b32_e32 v5, v8
	s_nop 0
	v_addc_co_u32_e32 v13, vcc, 0, v13, vcc
	v_lshl_add_u64 v[4:5], v[4:5], 0, v[12:13]
	v_mul_lo_u32 v1, s29, v4
	v_mul_lo_u32 v9, s28, v5
	v_mad_u64_u32 v[12:13], s[2:3], s28, v4, 0
	v_add3_u32 v1, v13, v9, v1
	v_sub_u32_e32 v9, v11, v1
	v_mov_b32_e32 v13, s29
	v_sub_co_u32_e32 v16, vcc, v10, v12
	v_lshl_add_u64 v[14:15], v[4:5], 0, 1
	s_nop 0
	v_subb_co_u32_e64 v9, s[2:3], v9, v13, vcc
	v_subrev_co_u32_e64 v12, s[2:3], s28, v16
	v_subb_co_u32_e32 v1, vcc, v11, v1, vcc
	s_nop 0
	v_subbrev_co_u32_e64 v9, s[2:3], 0, v9, s[2:3]
	v_cmp_le_u32_e64 s[2:3], s29, v9
	v_cmp_le_u32_e32 vcc, s29, v1
	s_nop 0
	v_cndmask_b32_e64 v13, 0, -1, s[2:3]
	v_cmp_le_u32_e64 s[2:3], s28, v12
	s_nop 1
	v_cndmask_b32_e64 v12, 0, -1, s[2:3]
	v_cmp_eq_u32_e64 s[2:3], s29, v9
	s_nop 1
	v_cndmask_b32_e64 v9, v13, v12, s[2:3]
	v_lshl_add_u64 v[12:13], v[4:5], 0, 2
	v_cmp_ne_u32_e64 s[2:3], 0, v9
	s_nop 1
	v_cndmask_b32_e64 v9, v15, v13, s[2:3]
	v_cndmask_b32_e64 v13, 0, -1, vcc
	v_cmp_le_u32_e32 vcc, s28, v16
	s_nop 1
	v_cndmask_b32_e64 v15, 0, -1, vcc
	v_cmp_eq_u32_e32 vcc, s29, v1
	s_nop 1
	v_cndmask_b32_e32 v1, v13, v15, vcc
	v_cmp_ne_u32_e32 vcc, 0, v1
	v_cndmask_b32_e64 v1, v14, v12, s[2:3]
	s_nop 0
	v_cndmask_b32_e32 v5, v5, v9, vcc
	v_cndmask_b32_e32 v4, v4, v1, vcc
.LBB0_4:                                ;   in Loop: Header=BB0_2 Depth=1
	s_andn2_saveexec_b64 s[2:3], s[30:31]
	s_cbranch_execz .LBB0_6
; %bb.5:                                ;   in Loop: Header=BB0_2 Depth=1
	v_cvt_f32_u32_e32 v1, s28
	s_sub_i32 s30, 0, s28
	v_rcp_iflag_f32_e32 v1, v1
	s_nop 0
	v_mul_f32_e32 v1, 0x4f7ffffe, v1
	v_cvt_u32_f32_e32 v1, v1
	v_mul_lo_u32 v4, s30, v1
	v_mul_hi_u32 v4, v1, v4
	v_add_u32_e32 v1, v1, v4
	v_mul_hi_u32 v1, v10, v1
	v_mul_lo_u32 v4, v1, s28
	v_sub_u32_e32 v4, v10, v4
	v_add_u32_e32 v5, 1, v1
	v_subrev_u32_e32 v9, s28, v4
	v_cmp_le_u32_e32 vcc, s28, v4
	s_nop 1
	v_cndmask_b32_e32 v4, v4, v9, vcc
	v_cndmask_b32_e32 v1, v1, v5, vcc
	v_add_u32_e32 v5, 1, v1
	v_cmp_le_u32_e32 vcc, s28, v4
	s_nop 1
	v_cndmask_b32_e32 v4, v1, v5, vcc
	v_mov_b32_e32 v5, v8
.LBB0_6:                                ;   in Loop: Header=BB0_2 Depth=1
	s_or_b64 exec, exec, s[2:3]
	v_mad_u64_u32 v[12:13], s[2:3], v4, s28, 0
	s_load_dwordx2 s[2:3], s[22:23], 0x0
	v_mul_lo_u32 v1, v5, s28
	v_mul_lo_u32 v9, v4, s29
	s_load_dwordx2 s[28:29], s[20:21], 0x0
	s_add_u32 s26, s26, 1
	v_add3_u32 v1, v13, v9, v1
	v_sub_co_u32_e32 v9, vcc, v10, v12
	s_addc_u32 s27, s27, 0
	s_nop 0
	v_subb_co_u32_e32 v1, vcc, v11, v1, vcc
	s_add_u32 s20, s20, 8
	s_waitcnt lgkmcnt(0)
	v_mul_lo_u32 v10, s2, v1
	v_mul_lo_u32 v11, s3, v9
	v_mad_u64_u32 v[6:7], s[2:3], s2, v9, v[6:7]
	s_addc_u32 s21, s21, 0
	v_add3_u32 v7, v11, v7, v10
	v_mul_lo_u32 v1, s28, v1
	v_mul_lo_u32 v10, s29, v9
	v_mad_u64_u32 v[2:3], s[2:3], s28, v9, v[2:3]
	s_add_u32 s22, s22, 8
	v_add3_u32 v3, v10, v3, v1
	s_addc_u32 s23, s23, 0
	v_mov_b64_e32 v[10:11], s[6:7]
	s_add_u32 s24, s24, 8
	v_cmp_ge_u64_e32 vcc, s[26:27], v[10:11]
	s_addc_u32 s25, s25, 0
	s_cbranch_vccnz .LBB0_9
; %bb.7:                                ;   in Loop: Header=BB0_2 Depth=1
	v_mov_b64_e32 v[10:11], v[4:5]
	s_branch .LBB0_2
.LBB0_8:
	v_mov_b64_e32 v[2:3], v[6:7]
	v_mov_b64_e32 v[4:5], v[10:11]
.LBB0_9:
	s_load_dwordx2 s[0:1], s[0:1], 0x28
	s_lshl_b64 s[20:21], s[6:7], 3
	s_mov_b32 s6, 0x1ac5702
	v_mul_hi_u32 v1, v0, s6
	v_mul_u32_u24_e32 v1, 0x99, v1
	s_waitcnt lgkmcnt(0)
	v_cmp_gt_u64_e32 vcc, s[0:1], v[4:5]
	v_sub_u32_e32 v10, v0, v1
	s_movk_i32 s0, 0x75
	s_add_u32 s2, s14, s20
	v_cmp_gt_u32_e64 s[0:1], s0, v10
	s_addc_u32 s3, s15, s21
	s_and_b64 s[14:15], vcc, s[0:1]
	v_mov_b32_e32 v9, 0
	v_mov_b32_e32 v33, 0
                                        ; implicit-def: $vgpr16
                                        ; implicit-def: $vgpr8
                                        ; implicit-def: $vgpr18
                                        ; implicit-def: $vgpr11
                                        ; implicit-def: $vgpr19
                                        ; implicit-def: $vgpr12
                                        ; implicit-def: $vgpr20
                                        ; implicit-def: $vgpr13
                                        ; implicit-def: $vgpr21
                                        ; implicit-def: $vgpr14
                                        ; implicit-def: $vgpr22
                                        ; implicit-def: $vgpr15
                                        ; implicit-def: $vgpr23
                                        ; implicit-def: $vgpr17
                                        ; implicit-def: $vgpr24
                                        ; implicit-def: $vgpr34
                                        ; implicit-def: $vgpr25
                                        ; implicit-def: $vgpr35
                                        ; implicit-def: $vgpr26
                                        ; implicit-def: $vgpr36
                                        ; implicit-def: $vgpr27
                                        ; implicit-def: $vgpr37
                                        ; implicit-def: $vgpr28
                                        ; implicit-def: $vgpr38
                                        ; implicit-def: $vgpr29
                                        ; implicit-def: $vgpr39
                                        ; implicit-def: $vgpr30
                                        ; implicit-def: $vgpr40
                                        ; implicit-def: $vgpr31
                                        ; implicit-def: $vgpr41
                                        ; implicit-def: $vgpr32
                                        ; implicit-def: $vgpr42
	s_and_saveexec_b64 s[6:7], s[14:15]
	s_cbranch_execz .LBB0_11
; %bb.10:
	s_add_u32 s12, s12, s20
	s_addc_u32 s13, s13, s21
	s_load_dwordx2 s[12:13], s[12:13], 0x0
	v_add_u32_e32 v11, 0x75, v10
	s_waitcnt lgkmcnt(0)
	v_mul_lo_u32 v8, s13, v4
	v_mul_lo_u32 v9, s12, v5
	v_mad_u64_u32 v[0:1], s[12:13], s12, v4, 0
	v_add3_u32 v1, v1, v9, v8
	v_mad_u64_u32 v[8:9], s[12:13], s18, v10, 0
	v_mov_b32_e32 v12, v9
	v_mad_u64_u32 v[12:13], s[12:13], s19, v10, v[12:13]
	v_lshl_add_u64 v[0:1], v[0:1], 2, s[8:9]
	v_mov_b32_e32 v9, v12
	v_lshl_add_u64 v[0:1], v[6:7], 2, v[0:1]
	v_lshl_add_u64 v[6:7], v[8:9], 2, v[0:1]
	v_mad_u64_u32 v[8:9], s[8:9], s18, v11, 0
	v_mov_b32_e32 v12, v9
	v_mad_u64_u32 v[12:13], s[8:9], s19, v11, v[12:13]
	v_mov_b32_e32 v9, v12
	v_add_u32_e32 v11, 0xea, v10
	v_lshl_add_u64 v[18:19], v[8:9], 2, v[0:1]
	v_mad_u64_u32 v[8:9], s[8:9], s18, v11, 0
	v_mov_b32_e32 v12, v9
	v_mad_u64_u32 v[12:13], s[8:9], s19, v11, v[12:13]
	v_mov_b32_e32 v9, v12
	v_add_u32_e32 v11, 0x15f, v10
	;; [unrolled: 6-line block ×6, first 2 shown]
	v_lshl_add_u64 v[28:29], v[8:9], 2, v[0:1]
	v_mad_u64_u32 v[8:9], s[8:9], s18, v11, 0
	v_mov_b32_e32 v12, v9
	v_mad_u64_u32 v[12:13], s[8:9], s19, v11, v[12:13]
	v_mov_b32_e32 v9, v12
	v_lshl_add_u64 v[30:31], v[8:9], 2, v[0:1]
	global_load_dword v33, v[6:7], off
	global_load_dword v8, v[18:19], off
	;; [unrolled: 1-line block ×8, first 2 shown]
	v_add_u32_e32 v9, 0x3a8, v10
	v_mad_u64_u32 v[6:7], s[8:9], s18, v9, 0
	v_mov_b32_e32 v16, v7
	s_waitcnt vmcnt(0)
	v_mad_u64_u32 v[18:19], s[8:9], s19, v9, v[16:17]
	v_add_u32_e32 v9, 0x41d, v10
	v_mov_b32_e32 v7, v18
	v_mad_u64_u32 v[18:19], s[8:9], s18, v9, 0
	v_mov_b32_e32 v16, v19
	v_mad_u64_u32 v[20:21], s[8:9], s19, v9, v[16:17]
	v_add_u32_e32 v9, 0x492, v10
	v_mov_b32_e32 v19, v20
	v_mad_u64_u32 v[20:21], s[8:9], s18, v9, 0
	v_mov_b32_e32 v16, v21
	;; [unrolled: 5-line block ×7, first 2 shown]
	v_mad_u64_u32 v[34:35], s[8:9], s19, v9, v[16:17]
	v_lshl_add_u64 v[6:7], v[6:7], 2, v[0:1]
	v_mov_b32_e32 v31, v34
	v_add_u32_e32 v9, 0x750, v10
	v_lshl_add_u64 v[18:19], v[18:19], 2, v[0:1]
	v_lshl_add_u64 v[20:21], v[20:21], 2, v[0:1]
	;; [unrolled: 1-line block ×7, first 2 shown]
	global_load_dword v34, v[6:7], off
	global_load_dword v35, v[18:19], off
	;; [unrolled: 1-line block ×8, first 2 shown]
	v_mad_u64_u32 v[6:7], s[8:9], s18, v9, 0
	v_mov_b32_e32 v16, v7
	v_mad_u64_u32 v[18:19], s[8:9], s19, v9, v[16:17]
	v_mov_b32_e32 v7, v18
	v_lshl_add_u64 v[0:1], v[6:7], 2, v[0:1]
	global_load_dword v42, v[0:1], off
	v_lshrrev_b32_e32 v9, 16, v33
	v_lshrrev_b32_e32 v16, 16, v8
	;; [unrolled: 1-line block ×8, first 2 shown]
	s_waitcnt vmcnt(8)
	v_lshrrev_b32_e32 v24, 16, v34
	s_waitcnt vmcnt(7)
	v_lshrrev_b32_e32 v25, 16, v35
	;; [unrolled: 2-line block ×9, first 2 shown]
.LBB0_11:
	s_or_b64 exec, exec, s[6:7]
	v_add_f16_e32 v6, v8, v42
	s_mov_b32 s8, 0x3b7639e9
	v_sub_f16_e32 v53, v16, v32
	v_add_f16_e32 v7, v11, v41
	v_pk_mul_f16 v56, v6, s8 op_sel_hi:[0,1]
	s_mov_b32 s28, 0xb5c8b964
	s_mov_b32 s9, 0x39e92de8
	v_sub_f16_e32 v54, v18, v31
	v_add_f16_e32 v43, v12, v40
	v_pk_fma_f16 v0, v53, s28, v56 op_sel_hi:[0,1,1]
	v_pk_mul_f16 v58, v7, s9 op_sel_hi:[0,1]
	s_mov_b32 s29, 0xb964bbf7
	s_mov_b32 s12, 0x3722b8d2
	v_sub_f16_e32 v50, v19, v30
	v_add_f16_e32 v44, v13, v39
	v_pk_add_f16 v0, v33, v0 op_sel_hi:[0,1]
	v_pk_fma_f16 v1, v54, s29, v58 op_sel_hi:[0,1,1]
	v_pk_mul_f16 v59, v43, s12 op_sel_hi:[0,1]
	s_mov_b32 s30, 0xbb29ba62
	s_mov_b32 s13, 0x2de8bbdd
	v_sub_f16_e32 v48, v20, v29
	v_add_f16_e32 v45, v14, v38
	v_pk_add_f16 v0, v1, v0
	v_pk_fma_f16 v1, v50, s30, v59 op_sel_hi:[0,1,1]
	v_pk_mul_f16 v61, v44, s13 op_sel_hi:[0,1]
	s_mov_b32 s31, 0xbbf7b1e1
	s_mov_b32 s14, 0xb461bacd
	v_sub_f16_e32 v49, v21, v28
	v_add_f16_e32 v46, v15, v37
	v_pk_add_f16 v0, v1, v0
	;; [unrolled: 7-line block ×3, first 2 shown]
	v_pk_fma_f16 v1, v49, s33, v62 op_sel_hi:[0,1,1]
	v_pk_mul_f16 v63, v46, s15 op_sel_hi:[0,1]
	s_mov_b32 s34, 0xba623bb2
	s_mov_b32 s18, 0xbacd3722
	v_sub_f16_e32 v52, v23, v26
	v_pk_add_f16 v0, v1, v0
	v_pk_fma_f16 v1, v51, s34, v63 op_sel_hi:[0,1,1]
	v_pk_mul_f16 v64, v47, s18 op_sel_hi:[0,1]
	s_mov_b32 s36, 0xb8363b29
	s_mov_b32 s19, 0x37222de8
	v_pk_add_f16 v0, v1, v0
	v_pk_fma_f16 v1, v52, s36, v64 op_sel_hi:[0,1,1]
	v_pk_mul_f16 v65, v6, s19 op_sel_hi:[0,1]
	s_mov_b32 s37, 0xbb29bbf7
	s_mov_b32 s20, 0xb8d2bbdd
	;; [unrolled: 5-line block ×3, first 2 shown]
	v_pk_add_f16 v1, v33, v1 op_sel_hi:[0,1]
	v_pk_fma_f16 v55, v54, s38, v67 op_sel_hi:[0,1,1]
	v_pk_mul_f16 v68, v43, s21 op_sel_hi:[0,1]
	s_mov_b32 s39, 0x31e13bb2
	s_mov_b32 s22, 0xb4613b76
	v_pk_add_f16 v1, v55, v1
	v_pk_fma_f16 v55, v50, s39, v68 op_sel_hi:[0,1,1]
	v_pk_mul_f16 v69, v44, s22 op_sel_hi:[0,1]
	s_mov_b32 s40, 0x3bb235c8
	v_pk_add_f16 v1, v55, v1
	v_pk_fma_f16 v55, v48, s40, v69 op_sel_hi:[0,1,1]
	s_mov_b32 s23, 0x39e93722
	v_pk_add_f16 v1, v55, v1
	s_mov_b32 s41, 0x3964bb29
	v_pk_mul_f16 v55, v45, s23 op_sel_hi:[0,1]
	v_pk_fma_f16 v57, v49, s41, v55 op_sel_hi:[0,1,1]
	s_mov_b32 s24, 0x3b76bacd
	v_pk_add_f16 v1, v57, v1
	s_mov_b32 s42, 0xb5c8b836
	v_pk_mul_f16 v57, v46, s24 op_sel_hi:[0,1]
	;; [unrolled: 5-line block ×3, first 2 shown]
	s_mov_b32 s27, 0xbbdd3b76
	v_add_f16_e32 v70, v34, v35
	v_pk_fma_f16 v66, v52, s43, v60 op_sel_hi:[0,1,1]
	s_mov_b32 s45, 0xb1e135c8
	v_sub_f16_e32 v71, v24, v25
	v_pk_mul_f16 v72, v70, s27 op_sel_hi:[0,1]
	s_mov_b32 s26, 0xbacd39e9
	v_pk_add_f16 v73, v66, v1
	v_pk_fma_f16 v1, v71, s45, v72 op_sel_hi:[0,1,1]
	s_mov_b32 s44, 0xb8363964
	v_pk_mul_f16 v66, v70, s26 op_sel_hi:[0,1]
	v_pk_add_f16 v1, v1, v0
	v_pk_fma_f16 v0, v71, s44, v66 op_sel_hi:[0,1,1]
	v_pk_add_f16 v0, v0, v73
	s_mov_b32 s35, 0x5040100
	s_and_saveexec_b64 s[6:7], s[0:1]
	s_cbranch_execz .LBB0_13
; %bb.12:
	s_mov_b32 s47, 0xbbdd
	v_mul_f16_e32 v82, 0xb1e1, v53
	s_movk_i32 s48, 0x3b76
	v_mul_f16_e32 v83, 0x35c8, v54
	v_fma_f16 v90, v6, s47, -v82
	s_mov_b32 s49, 0xbacd
	v_mul_f16_e32 v84, 0xb836, v50
	v_add_f16_e32 v90, v33, v90
	v_fma_f16 v91, v7, s48, -v83
	s_movk_i32 s50, 0x39e9
	v_mul_f16_e32 v85, 0x3964, v48
	v_add_f16_e32 v90, v91, v90
	v_fma_f16 v91, v43, s49, -v84
	s_mov_b32 s51, 0xb8d2
	v_mul_f16_e32 v86, 0xba62, v49
	v_add_f16_e32 v90, v91, v90
	v_fma_f16 v91, v44, s50, -v85
	s_movk_i32 s52, 0x3722
	v_mul_f16_e32 v87, 0x3b29, v51
	v_add_f16_e32 v90, v91, v90
	;; [unrolled: 8-line block ×3, first 2 shown]
	v_fma_f16 v91, v47, s53, -v88
	v_pack_b32_f16 v73, v6, v6
	v_pack_b32_f16 v74, v53, v53
	v_add_f16_e32 v90, v91, v90
	v_fma_f16 v91, v70, s54, -v89
	s_mov_b32 s46, 0xbacdb8d2
	s_mov_b32 s55, 0xb836ba62
	v_pack_b32_f16 v75, v7, v7
	v_pack_b32_f16 v76, v54, v54
	v_add_f16_e32 v90, v91, v90
	v_pk_mul_f16 v91, v73, s46
	v_pk_mul_f16 v74, v74, s55
	s_mov_b32 s55, 0x3722b461
	s_mov_b32 s56, 0x3b293bb2
	v_pack_b32_f16 v77, v43, v43
	v_pack_b32_f16 v78, v50, v50
	v_pk_mul_f16 v92, v75, s55
	v_pk_mul_f16 v76, v76, s56
	s_mov_b32 s56, 0x2de83b76
	s_mov_b32 s57, 0xbbf7b5c8
	v_add_f16_e32 v95, v74, v91
	v_pack_b32_f16 v79, v44, v44
	v_pack_b32_f16 v80, v48, v48
	v_pk_mul_f16 v93, v77, s56
	v_pk_mul_f16 v78, v78, s57
	s_mov_b32 s57, 0xb8d2bacd
	s_mov_b32 s58, 0x3a62b836
	v_add_f16_e32 v95, v33, v95
	v_add_f16_e32 v96, v76, v92
	v_pk_mul_f16 v94, v79, s57
	v_pk_mul_f16 v80, v80, s58
	v_add_f16_e32 v95, v96, v95
	v_add_f16_e32 v96, v78, v93
	v_add_f16_e32 v95, v96, v95
	v_add_f16_e32 v96, v80, v94
	v_pack_b32_f16 v81, v45, v45
	v_add_f16_e32 v95, v96, v95
	v_pack_b32_f16 v96, v49, v49
	s_mov_b32 s58, 0x3b762de8
	s_mov_b32 s59, 0xb5c83bf7
	v_pk_mul_f16 v96, v96, s59
	v_pk_mul_f16 v97, v81, s58
	s_mov_b32 s59, 0xbbdd39e9
	v_add_f16_e32 v98, v96, v97
	v_add_f16_e32 v95, v98, v95
	s_mov_b32 s60, 0xb1e1b964
	v_pack_b32_f16 v98, v51, v51
	v_pack_b32_f16 v99, v46, v46
	v_pk_mul_f16 v98, v98, s60
	v_pk_mul_f16 v100, v99, s59
	s_mov_b32 s60, 0x39e9bbdd
	v_add_f16_e32 v101, v98, v100
	v_add_f16_e32 v95, v101, v95
	s_mov_b32 s61, 0x3964b1e1
	v_pack_b32_f16 v101, v52, v52
	v_pack_b32_f16 v102, v47, v47
	;; [unrolled: 8-line block ×3, first 2 shown]
	v_pk_mul_f16 v104, v104, s62
	v_pk_mul_f16 v106, v105, s61
	v_mul_f16_e32 v109, 0x3836, v54
	v_add_f16_e32 v107, v104, v106
	v_add_f16_e32 v95, v107, v95
	v_mul_f16_e32 v107, 0xbbb2, v53
	v_fma_f16 v108, v6, s53, v107
	v_add_f16_e32 v108, v33, v108
	v_fma_f16 v110, v7, s49, v109
	v_add_f16_e32 v108, v110, v108
	v_mul_f16_e32 v110, 0x3964, v50
	v_fma_f16 v111, v43, s50, v110
	v_add_f16_e32 v108, v111, v108
	v_mul_f16_e32 v111, 0xbb29, v48
	;; [unrolled: 3-line block ×3, first 2 shown]
	v_fma_f16 v107, v6, s53, -v107
	v_fma_f16 v113, v45, s47, v112
	v_add_f16_e32 v107, v33, v107
	v_fma_f16 v109, v7, s49, -v109
	v_add_f16_e32 v108, v113, v108
	v_mul_f16_e32 v113, 0x3bf7, v51
	v_add_f16_e32 v107, v109, v107
	v_fma_f16 v109, v43, s50, -v110
	v_fma_f16 v114, v46, s54, v113
	v_add_f16_e32 v107, v109, v107
	v_fma_f16 v109, v44, s52, -v111
	v_add_f16_e32 v108, v114, v108
	v_mul_f16_e32 v114, 0xb5c8, v52
	v_add_f16_e32 v107, v109, v107
	;; [unrolled: 7-line block ×3, first 2 shown]
	v_fma_f16 v109, v47, s48, -v114
	v_add_f16_e32 v107, v109, v107
	v_fma_f16 v109, v70, s51, -v115
	v_add_f16_e32 v107, v109, v107
	v_pk_mul_f16 v109, v53, s28 op_sel_hi:[0,1]
	v_pk_add_f16 v56, v56, v109 neg_lo:[0,1] neg_hi:[0,1]
	v_pk_mul_f16 v109, v54, s29 op_sel_hi:[0,1]
	v_pk_add_f16 v58, v58, v109 neg_lo:[0,1] neg_hi:[0,1]
	v_perm_b32 v109, v33, v33, s35
	v_pk_add_f16 v56, v109, v56
	v_pk_mul_f16 v53, v53, s37 op_sel_hi:[0,1]
	v_pk_add_f16 v56, v58, v56
	v_pk_mul_f16 v58, v50, s30 op_sel_hi:[0,1]
	v_pk_add_f16 v58, v59, v58 neg_lo:[0,1] neg_hi:[0,1]
	v_pk_add_f16 v53, v65, v53 neg_lo:[0,1] neg_hi:[0,1]
	v_pk_add_f16 v56, v58, v56
	v_pk_mul_f16 v58, v48, s31 op_sel_hi:[0,1]
	v_pk_add_f16 v58, v61, v58 neg_lo:[0,1] neg_hi:[0,1]
	v_pk_mul_f16 v54, v54, s38 op_sel_hi:[0,1]
	v_pk_add_f16 v56, v58, v56
	v_pk_mul_f16 v58, v49, s33 op_sel_hi:[0,1]
	v_pk_add_f16 v58, v62, v58 neg_lo:[0,1] neg_hi:[0,1]
	v_add_f16_e32 v33, v33, v8
	v_pk_add_f16 v56, v58, v56
	v_pk_mul_f16 v58, v51, s34 op_sel_hi:[0,1]
	v_pk_add_f16 v58, v63, v58 neg_lo:[0,1] neg_hi:[0,1]
	v_pk_add_f16 v54, v67, v54 neg_lo:[0,1] neg_hi:[0,1]
	v_pk_add_f16 v56, v58, v56
	v_pk_mul_f16 v58, v52, s36 op_sel_hi:[0,1]
	v_pk_add_f16 v58, v64, v58 neg_lo:[0,1] neg_hi:[0,1]
	v_pk_add_f16 v53, v109, v53
	v_pk_mul_f16 v50, v50, s39 op_sel_hi:[0,1]
	v_add_f16_e32 v33, v33, v11
	v_pk_add_f16 v56, v58, v56
	v_pk_mul_f16 v58, v71, s45 op_sel_hi:[0,1]
	v_pk_add_f16 v53, v54, v53
	v_pk_add_f16 v50, v68, v50 neg_lo:[0,1] neg_hi:[0,1]
	v_pk_mul_f16 v48, v48, s40 op_sel_hi:[0,1]
	v_add_f16_e32 v33, v33, v12
	v_pk_add_f16 v58, v72, v58 neg_lo:[0,1] neg_hi:[0,1]
	v_pk_add_f16 v50, v50, v53
	v_pk_add_f16 v48, v69, v48 neg_lo:[0,1] neg_hi:[0,1]
	v_pk_mul_f16 v49, v49, s41 op_sel_hi:[0,1]
	v_add_f16_e32 v33, v33, v13
	v_pk_add_f16 v56, v58, v56
	v_pk_mul_f16 v51, v51, s42 op_sel_hi:[0,1]
	v_mul_f16_e32 v54, 0x39e9, v44
	v_mul_f16_e32 v58, 0xb8d2, v45
	v_add_f16_e32 v33, v33, v14
	v_pk_add_f16 v44, v48, v50
	v_pk_add_f16 v45, v55, v49 neg_lo:[0,1] neg_hi:[0,1]
	v_pk_mul_f16 v52, v52, s43 op_sel_hi:[0,1]
	v_add_f16_e32 v33, v33, v15
	v_pk_add_f16 v44, v45, v44
	v_pk_add_f16 v45, v57, v51 neg_lo:[0,1] neg_hi:[0,1]
	v_pk_mul_f16 v53, v71, s44 op_sel_hi:[0,1]
	v_add_f16_e32 v33, v33, v17
	v_pk_add_f16 v44, v45, v44
	v_pk_add_f16 v45, v60, v52 neg_lo:[0,1] neg_hi:[0,1]
	v_add_f16_e32 v33, v33, v34
	v_pk_add_f16 v44, v45, v44
	v_pk_add_f16 v45, v66, v53 neg_lo:[0,1] neg_hi:[0,1]
	v_add_f16_e32 v33, v33, v35
	v_pk_add_f16 v44, v45, v44
	v_pk_fma_f16 v45, v73, s46, v74 neg_lo:[0,0,1] neg_hi:[0,0,1]
	v_mul_f16_e32 v59, 0x3722, v46
	v_add_f16_e32 v33, v33, v36
	v_pk_add_f16 v45, v109, v45
	v_pk_fma_f16 v46, v75, s55, v76 neg_lo:[0,0,1] neg_hi:[0,0,1]
	v_add_f16_e32 v33, v33, v37
	v_pk_add_f16 v45, v46, v45
	v_pk_fma_f16 v46, v77, s56, v78 neg_lo:[0,0,1] neg_hi:[0,0,1]
	;; [unrolled: 3-line block ×6, first 2 shown]
	v_mul_f16_e32 v6, 0xbbdd, v6
	v_add_f16_e32 v33, v33, v42
	v_pk_add_f16 v45, v46, v45
	v_pk_fma_f16 v46, v105, s61, v104 neg_lo:[0,0,1] neg_hi:[0,0,1]
	s_mov_b32 s46, 0xffff
	v_mul_f16_e32 v7, 0x3b76, v7
	v_mul_f16_e32 v61, 0xb461, v47
	v_pk_add_f16 v47, v46, v45
	v_bfi_b32 v45, s46, v56, v44
	v_pack_b32_f16 v46, v44, v107
	v_bfi_b32 v44, s46, v33, v56
	v_bfi_b32 v33, s46, v82, v74
	;; [unrolled: 1-line block ×3, first 2 shown]
	v_pk_add_f16 v6, v33, v6
	v_bfi_b32 v33, s46, v83, v76
	v_bfi_b32 v7, s46, v7, v92
	v_mul_f16_e32 v43, 0xbacd, v43
	v_pk_add_f16 v6, v109, v6
	v_pk_add_f16 v7, v33, v7
	v_bfi_b32 v33, s46, v43, v93
	v_pk_add_f16 v6, v7, v6
	v_bfi_b32 v7, s46, v84, v78
	;; [unrolled: 2-line block ×10, first 2 shown]
	v_mul_f16_e32 v62, 0x2de8, v70
	v_pk_add_f16 v7, v7, v33
	v_bfi_b32 v33, s46, v62, v106
	v_pk_add_f16 v6, v7, v6
	v_bfi_b32 v7, s46, v89, v104
	v_pk_add_f16 v7, v7, v33
	v_fma_f16 v116, v70, s51, v115
	v_pk_add_f16 v6, v7, v6
	v_mad_u32_u24 v48, v10, 34, 0
	v_alignbit_b32 v7, v95, v6, 16
	v_pack_b32_f16 v6, v90, v6
	v_add_f16_e32 v108, v116, v108
	ds_write_b128 v48, v[44:47]
	ds_write_b64 v48, v[6:7] offset:16
	ds_write_b16 v48, v108 offset:24
	ds_write_b64 v48, v[0:1] offset:26
.LBB0_13:
	s_or_b64 exec, exec, s[6:7]
	v_sub_f16_e32 v71, v8, v42
	v_add_f16_e32 v70, v16, v32
	v_sub_f16_e32 v69, v11, v41
	v_pk_mul_f16 v43, v71, s28 op_sel_hi:[0,1]
	v_add_f16_e32 v68, v18, v31
	v_sub_f16_e32 v67, v12, v40
	v_pk_fma_f16 v6, v70, s8, v43 op_sel_hi:[0,1,1] neg_lo:[0,0,1] neg_hi:[0,0,1]
	v_pk_mul_f16 v44, v69, s29 op_sel_hi:[0,1]
	v_add_f16_e32 v66, v19, v30
	v_sub_f16_e32 v65, v13, v39
	v_pk_add_f16 v6, v9, v6 op_sel_hi:[0,1]
	v_pk_fma_f16 v7, v68, s9, v44 op_sel_hi:[0,1,1] neg_lo:[0,0,1] neg_hi:[0,0,1]
	v_pk_mul_f16 v46, v67, s30 op_sel_hi:[0,1]
	v_add_f16_e32 v64, v20, v29
	v_sub_f16_e32 v63, v14, v38
	v_pk_add_f16 v6, v7, v6
	v_pk_fma_f16 v7, v66, s12, v46 op_sel_hi:[0,1,1] neg_lo:[0,0,1] neg_hi:[0,0,1]
	v_pk_mul_f16 v47, v65, s31 op_sel_hi:[0,1]
	v_add_f16_e32 v61, v21, v28
	v_sub_f16_e32 v55, v15, v37
	v_pk_add_f16 v6, v7, v6
	;; [unrolled: 5-line block ×4, first 2 shown]
	v_pk_fma_f16 v7, v50, s15, v49 op_sel_hi:[0,1,1] neg_lo:[0,0,1] neg_hi:[0,0,1]
	v_pk_mul_f16 v51, v45, s36 op_sel_hi:[0,1]
	v_add_f16_e32 v40, v24, v25
	v_pk_add_f16 v6, v7, v6
	v_pk_fma_f16 v7, v42, s18, v51 op_sel_hi:[0,1,1] neg_lo:[0,0,1] neg_hi:[0,0,1]
	v_pk_mul_f16 v52, v41, s45 op_sel_hi:[0,1]
	v_pk_add_f16 v6, v7, v6
	v_pk_fma_f16 v7, v40, s27, v52 op_sel_hi:[0,1,1] neg_lo:[0,0,1] neg_hi:[0,0,1]
	v_pk_mul_f16 v53, v71, s37 op_sel_hi:[0,1]
	;; [unrolled: 3-line block ×3, first 2 shown]
	v_pk_add_f16 v6, v9, v6 op_sel_hi:[0,1]
	v_pk_fma_f16 v8, v68, s20, v54 op_sel_hi:[0,1,1] neg_lo:[0,0,1] neg_hi:[0,0,1]
	v_pk_mul_f16 v56, v67, s39 op_sel_hi:[0,1]
	v_pk_add_f16 v6, v8, v6
	v_pk_fma_f16 v8, v66, s21, v56 op_sel_hi:[0,1,1] neg_lo:[0,0,1] neg_hi:[0,0,1]
	v_pk_mul_f16 v57, v65, s40 op_sel_hi:[0,1]
	v_pk_add_f16 v6, v8, v6
	;; [unrolled: 3-line block ×5, first 2 shown]
	v_pk_fma_f16 v8, v42, s25, v60 op_sel_hi:[0,1,1] neg_lo:[0,0,1] neg_hi:[0,0,1]
	v_pk_add_f16 v6, v8, v6
	v_lshl_add_u32 v8, v10, 1, 0
	s_waitcnt lgkmcnt(0)
	s_barrier
	ds_read_u16 v12, v8
	ds_read_u16 v39, v8 offset:306
	ds_read_u16 v38, v8 offset:612
	;; [unrolled: 1-line block ×12, first 2 shown]
	v_pk_mul_f16 v62, v41, s44 op_sel_hi:[0,1]
	v_pk_fma_f16 v72, v40, s26, v62 op_sel_hi:[0,1,1] neg_lo:[0,0,1] neg_hi:[0,0,1]
	v_pk_add_f16 v6, v72, v6
	s_waitcnt lgkmcnt(0)
	s_barrier
	s_and_saveexec_b64 s[6:7], s[0:1]
	s_cbranch_execz .LBB0_15
; %bb.14:
	v_add_f16_e32 v16, v9, v16
	v_add_f16_e32 v16, v16, v18
	;; [unrolled: 1-line block ×4, first 2 shown]
	v_mul_f16_e32 v18, 0xbbb2, v71
	s_mov_b32 s0, 0xb461
	v_mul_f16_e32 v20, 0xb1e1, v71
	s_mov_b32 s1, 0xbbdd
	v_add_f16_e32 v16, v16, v21
	v_fma_f16 v19, v70, s0, v18
	v_fma_f16 v18, v70, s0, -v18
	v_fma_f16 v21, v70, s1, v20
	v_fma_f16 v20, v70, s1, -v20
	v_pk_mul_f16 v73, v70, s8 op_sel_hi:[0,1]
	v_perm_b32 v75, v9, v9, s35
	v_add_f16_e32 v19, v9, v19
	v_add_f16_e32 v18, v9, v18
	;; [unrolled: 1-line block ×4, first 2 shown]
	v_mul_f16_e32 v20, 0x3836, v69
	s_mov_b32 s8, 0xbacd
	v_add_f16_e32 v16, v16, v22
	v_fma_f16 v22, v68, s8, v20
	v_fma_f16 v20, v68, s8, -v20
	v_pk_mul_f16 v77, v68, s9 op_sel_hi:[0,1]
	v_add_f16_e32 v18, v20, v18
	v_mul_f16_e32 v20, 0x35c8, v69
	s_movk_i32 s9, 0x3b76
	v_add_f16_e32 v19, v22, v19
	v_fma_f16 v22, v68, s9, v20
	v_fma_f16 v20, v68, s9, -v20
	v_pk_mul_f16 v80, v66, s12 op_sel_hi:[0,1]
	v_add_f16_e32 v9, v20, v9
	v_mul_f16_e32 v20, 0x3964, v67
	s_movk_i32 s12, 0x39e9
	v_add_f16_e32 v21, v22, v21
	v_fma_f16 v22, v66, s12, v20
	v_fma_f16 v20, v66, s12, -v20
	v_add_f16_e32 v18, v20, v18
	v_mul_f16_e32 v20, 0xb836, v67
	v_add_f16_e32 v19, v22, v19
	v_fma_f16 v22, v66, s8, v20
	v_fma_f16 v20, v66, s8, -v20
	v_add_f16_e32 v9, v20, v9
	v_mul_f16_e32 v20, 0xbb29, v65
	s_movk_i32 s8, 0x3722
	v_add_f16_e32 v21, v22, v21
	v_fma_f16 v22, v64, s8, v20
	v_fma_f16 v20, v64, s8, -v20
	v_add_f16_e32 v18, v20, v18
	v_mul_f16_e32 v20, 0x3964, v65
	v_add_f16_e32 v19, v22, v19
	v_fma_f16 v22, v64, s12, v20
	v_fma_f16 v20, v64, s12, -v20
	v_add_f16_e32 v9, v20, v9
	v_mul_f16_e32 v20, 0xb1e1, v63
	;; [unrolled: 5-line block ×3, first 2 shown]
	s_mov_b32 s1, 0xb8d2
	v_add_f16_e32 v19, v22, v19
	v_fma_f16 v22, v61, s1, v20
	v_fma_f16 v20, v61, s1, -v20
	v_add_f16_e32 v9, v20, v9
	v_mul_f16_e32 v20, 0x3bf7, v55
	s_movk_i32 s12, 0x2de8
	v_add_f16_e32 v21, v22, v21
	v_fma_f16 v22, v50, s12, v20
	v_fma_f16 v20, v50, s12, -v20
	v_add_f16_e32 v18, v20, v18
	v_mul_f16_e32 v20, 0x3b29, v55
	v_add_f16_e32 v19, v22, v19
	v_fma_f16 v22, v50, s8, v20
	v_fma_f16 v20, v50, s8, -v20
	v_add_f16_e32 v9, v20, v9
	v_mul_f16_e32 v20, 0xb5c8, v45
	;; [unrolled: 5-line block ×3, first 2 shown]
	v_add_f16_e32 v19, v22, v19
	v_fma_f16 v22, v42, s0, v20
	v_fma_f16 v20, v42, s0, -v20
	v_add_f16_e32 v9, v20, v9
	v_pk_add_f16 v20, v73, v43
	v_add_f16_e32 v22, v22, v21
	v_pk_add_f16 v20, v75, v20
	v_pk_add_f16 v21, v77, v44
	v_pk_mul_f16 v83, v64, s13 op_sel_hi:[0,1]
	v_pk_add_f16 v20, v21, v20
	v_pk_add_f16 v21, v80, v46
	v_pk_mul_f16 v86, v61, s14 op_sel_hi:[0,1]
	;; [unrolled: 3-line block ×7, first 2 shown]
	v_add_f16_e32 v16, v16, v23
	v_pk_add_f16 v23, v21, v20
	v_pk_add_f16 v20, v97, v53
	v_pk_mul_f16 v99, v66, s21 op_sel_hi:[0,1]
	v_pk_add_f16 v20, v75, v20
	v_pk_add_f16 v21, v98, v54
	v_pk_mul_f16 v100, v64, s22 op_sel_hi:[0,1]
	;; [unrolled: 3-line block ×6, first 2 shown]
	v_pk_add_f16 v20, v21, v20
	v_pk_add_f16 v21, v103, v60
	v_add_f16_e32 v16, v16, v24
	v_pk_add_f16 v20, v21, v20
	v_pk_add_f16 v21, v104, v62
	v_pack_b32_f16 v74, v71, v71
	v_pk_add_f16 v20, v21, v20
	v_mul_f16_e32 v21, 0xba62, v41
	v_fma_f16 v24, v40, s1, v21
	v_add_f16_e32 v24, v24, v19
	v_fma_f16 v19, v40, s1, -v21
	s_mov_b32 s1, 0xb836ba62
	v_pack_b32_f16 v72, v70, v70
	v_pack_b32_f16 v78, v69, v69
	v_add_f16_e32 v16, v16, v25
	v_add_f16_e32 v25, v19, v18
	s_mov_b32 s0, 0xbacdb8d2
	v_pk_mul_f16 v18, v74, s1
	s_mov_b32 s8, 0x3b293bb2
	v_pack_b32_f16 v76, v68, v68
	v_pack_b32_f16 v81, v67, v67
	v_add_f16_e32 v16, v16, v26
	v_pk_fma_f16 v19, v72, s0, v18
	s_mov_b32 s1, 0x3722b461
	v_pk_mul_f16 v26, v78, s8
	s_mov_b32 s9, 0xbbf7b5c8
	v_pack_b32_f16 v79, v66, v66
	v_pack_b32_f16 v84, v65, v65
	v_add_f16_e32 v16, v16, v27
	v_pk_add_f16 v19, v75, v19
	v_pk_fma_f16 v21, v76, s1, v26
	s_mov_b32 s8, 0x2de83b76
	v_pk_mul_f16 v27, v81, s9
	s_mov_b32 s13, 0x3a62b836
	v_pack_b32_f16 v82, v64, v64
	v_pack_b32_f16 v87, v63, v63
	v_add_f16_e32 v16, v16, v28
	v_pk_add_f16 v19, v21, v19
	;; [unrolled: 8-line block ×5, first 2 shown]
	v_pk_fma_f16 v21, v88, s14, v30
	s_mov_b32 s15, 0x39e9bbdd
	v_pk_mul_f16 v31, v93, s18
	s_mov_b32 s19, 0xbbb23b29
	v_pack_b32_f16 v94, v40, v40
	v_add_f16_e32 v16, v16, v32
	v_pk_add_f16 v19, v21, v19
	v_pk_fma_f16 v21, v91, s15, v31
	s_mov_b32 s18, 0xb4613722
	v_pk_mul_f16 v32, v96, s19
	v_pk_add_f16 v19, v21, v19
	v_pk_fma_f16 v21, v94, s18, v32
	v_pk_fma_f16 v18, v72, s0, v18 neg_lo:[0,0,1] neg_hi:[0,0,1]
	v_pk_add_f16 v21, v21, v19
	v_pk_add_f16 v18, v75, v18
	v_pk_fma_f16 v19, v76, s1, v26 neg_lo:[0,0,1] neg_hi:[0,0,1]
	s_mov_b32 s0, 0xffff
	v_pk_add_f16 v18, v19, v18
	v_pk_fma_f16 v19, v79, s8, v27 neg_lo:[0,0,1] neg_hi:[0,0,1]
	v_lshl_add_u32 v27, v10, 5, v8
	v_pk_add_f16 v18, v19, v18
	v_pk_fma_f16 v19, v82, s9, v28 neg_lo:[0,0,1] neg_hi:[0,0,1]
	s_nop 0
	v_pk_add_f16 v18, v19, v18
	v_pk_fma_f16 v19, v85, s13, v29 neg_lo:[0,0,1] neg_hi:[0,0,1]
	s_nop 0
	;; [unrolled: 3-line block ×5, first 2 shown]
	v_pk_add_f16 v26, v19, v18
	v_mul_f16_e32 v18, 0x3bf7, v41
	v_fma_f16 v19, v40, s12, v18
	v_fma_f16 v18, v40, s12, -v18
	v_add_f16_e32 v22, v19, v22
	v_add_f16_e32 v9, v18, v9
	v_bfi_b32 v19, s0, v23, v20
	v_pack_b32_f16 v20, v20, v24
	v_bfi_b32 v18, s0, v16, v23
	ds_write_b128 v27, v[18:21]
	v_pack_b32_f16 v18, v22, v9
	v_alignbit_b32 v19, v26, v26, 16
	ds_write_b64 v27, v[18:19] offset:16
	ds_write_b16 v27, v25 offset:24
	ds_write_b64 v27, v[6:7] offset:26
.LBB0_15:
	s_or_b64 exec, exec, s[6:7]
	s_movk_i32 s0, 0xf1
	v_mul_lo_u16_sdwa v9, v10, s0 dst_sel:DWORD dst_unused:UNUSED_PAD src0_sel:BYTE_0 src1_sel:DWORD
	v_lshrrev_b16_e32 v16, 12, v9
	v_mul_lo_u16_e32 v9, 17, v16
	v_sub_u16_e32 v26, v10, v9
	v_mov_b32_e32 v9, 12
	v_mul_u32_u24_sdwa v9, v26, v9 dst_sel:DWORD dst_unused:UNUSED_PAD src0_sel:BYTE_0 src1_sel:DWORD
	v_lshlrev_b32_e32 v9, 2, v9
	s_load_dwordx2 s[2:3], s[2:3], 0x0
	s_waitcnt lgkmcnt(0)
	s_barrier
	global_load_dwordx4 v[18:21], v9, s[4:5]
	global_load_dwordx4 v[22:25], v9, s[4:5] offset:16
	global_load_dwordx4 v[44:47], v9, s[4:5] offset:32
	ds_read_u16 v9, v8
	ds_read_u16 v27, v8 offset:306
	ds_read_u16 v28, v8 offset:612
	;; [unrolled: 1-line block ×12, first 2 shown]
	s_mov_b32 s9, 0xbbc4
	s_mov_b32 s12, 0xb9fd
	s_movk_i32 s8, 0x2fb7
	s_movk_i32 s14, 0x3b15
	;; [unrolled: 1-line block ×3, first 2 shown]
	s_mov_b32 s13, 0xb5ac
	s_mov_b32 s21, 0xb770ba95
	;; [unrolled: 1-line block ×25, first 2 shown]
	v_mul_u32_u24_e32 v16, 0x1ba, v16
	s_waitcnt lgkmcnt(0)
	s_barrier
	s_movk_i32 s0, 0x44
	v_cmp_gt_u32_e64 s[0:1], s0, v10
	s_waitcnt vmcnt(2)
	v_mul_f16_sdwa v40, v27, v18 dst_sel:DWORD dst_unused:UNUSED_PAD src0_sel:DWORD src1_sel:WORD_1
	v_mul_f16_sdwa v41, v39, v18 dst_sel:DWORD dst_unused:UNUSED_PAD src0_sel:DWORD src1_sel:WORD_1
	;; [unrolled: 1-line block ×3, first 2 shown]
	s_waitcnt vmcnt(1)
	v_mul_f16_sdwa v62, v32, v23 dst_sel:DWORD dst_unused:UNUSED_PAD src0_sel:DWORD src1_sel:WORD_1
	s_waitcnt vmcnt(0)
	v_mul_f16_sdwa v70, v51, v45 dst_sel:DWORD dst_unused:UNUSED_PAD src0_sel:DWORD src1_sel:WORD_1
	v_mul_f16_sdwa v71, v14, v45 dst_sel:DWORD dst_unused:UNUSED_PAD src0_sel:DWORD src1_sel:WORD_1
	;; [unrolled: 1-line block ×3, first 2 shown]
	v_fma_f16 v42, v39, v18, -v40
	v_mul_f16_sdwa v56, v29, v20 dst_sel:DWORD dst_unused:UNUSED_PAD src0_sel:DWORD src1_sel:WORD_1
	v_mul_f16_sdwa v63, v34, v23 dst_sel:DWORD dst_unused:UNUSED_PAD src0_sel:DWORD src1_sel:WORD_1
	;; [unrolled: 1-line block ×3, first 2 shown]
	v_fma_f16 v43, v27, v18, v41
	v_fma_f16 v40, v38, v19, -v54
	v_fma_f16 v18, v34, v23, -v62
	;; [unrolled: 1-line block ×3, first 2 shown]
	v_fma_f16 v34, v51, v45, v71
	v_fma_f16 v45, v11, v47, -v74
	v_add_f16_e32 v11, v12, v42
	v_mul_f16_sdwa v55, v38, v19 dst_sel:DWORD dst_unused:UNUSED_PAD src0_sel:DWORD src1_sel:WORD_1
	v_mul_f16_sdwa v58, v30, v21 dst_sel:DWORD dst_unused:UNUSED_PAD src0_sel:DWORD src1_sel:WORD_1
	v_fma_f16 v38, v37, v20, -v56
	v_add_f16_e32 v11, v11, v40
	v_mul_f16_sdwa v59, v36, v21 dst_sel:DWORD dst_unused:UNUSED_PAD src0_sel:DWORD src1_sel:WORD_1
	v_mul_f16_sdwa v60, v31, v22 dst_sel:DWORD dst_unused:UNUSED_PAD src0_sel:DWORD src1_sel:WORD_1
	v_fma_f16 v36, v36, v21, -v58
	v_add_f16_e32 v11, v11, v38
	v_mul_f16_sdwa v57, v37, v20 dst_sel:DWORD dst_unused:UNUSED_PAD src0_sel:DWORD src1_sel:WORD_1
	v_fma_f16 v37, v30, v21, v59
	v_fma_f16 v30, v35, v22, -v60
	v_add_f16_e32 v11, v11, v36
	v_mul_f16_sdwa v64, v48, v24 dst_sel:DWORD dst_unused:UNUSED_PAD src0_sel:DWORD src1_sel:WORD_1
	v_add_f16_e32 v11, v11, v30
	v_mul_f16_sdwa v66, v49, v25 dst_sel:DWORD dst_unused:UNUSED_PAD src0_sel:DWORD src1_sel:WORD_1
	v_fma_f16 v41, v28, v19, v55
	v_fma_f16 v28, v33, v24, -v64
	v_add_f16_e32 v11, v11, v18
	v_mul_f16_sdwa v67, v17, v25 dst_sel:DWORD dst_unused:UNUSED_PAD src0_sel:DWORD src1_sel:WORD_1
	v_mul_f16_sdwa v68, v50, v44 dst_sel:DWORD dst_unused:UNUSED_PAD src0_sel:DWORD src1_sel:WORD_1
	;; [unrolled: 1-line block ×5, first 2 shown]
	v_fma_f16 v17, v17, v25, -v66
	v_add_f16_e32 v11, v11, v28
	v_mul_f16_sdwa v61, v35, v22 dst_sel:DWORD dst_unused:UNUSED_PAD src0_sel:DWORD src1_sel:WORD_1
	v_mul_f16_sdwa v65, v33, v24 dst_sel:DWORD dst_unused:UNUSED_PAD src0_sel:DWORD src1_sel:WORD_1
	v_fma_f16 v15, v15, v44, -v68
	v_fma_f16 v33, v50, v44, v69
	v_fma_f16 v35, v13, v46, -v72
	v_fma_f16 v44, v52, v46, v73
	v_fma_f16 v46, v53, v47, v75
	v_add_f16_e32 v11, v11, v17
	v_fma_f16 v39, v29, v20, v57
	v_sub_f16_e32 v20, v43, v46
	v_add_f16_e32 v11, v11, v15
	v_fma_f16 v31, v31, v22, v61
	v_add_f16_e32 v13, v42, v45
	v_mul_f16_e32 v22, 0xb3a8, v20
	v_add_f16_e32 v11, v11, v14
	v_fma_f16 v29, v48, v24, v65
	v_mul_f16_e32 v21, 0xb94e, v20
	v_fma_f16 v24, v13, s9, -v22
	v_fma_f16 v22, v13, s9, v22
	v_add_f16_e32 v11, v11, v35
	v_sub_f16_e32 v27, v41, v44
	v_fma_f16 v19, v32, v23, v63
	v_fma_f16 v32, v49, v25, v67
	v_fma_f16 v23, v13, s12, -v21
	v_fma_f16 v21, v13, s12, v21
	v_add_f16_e32 v25, v11, v45
	v_add_f16_e32 v11, v12, v22
	;; [unrolled: 1-line block ×3, first 2 shown]
	v_mul_f16_e32 v47, 0x3bf1, v27
	v_add_f16_e32 v21, v12, v21
	v_fma_f16 v48, v22, s8, -v47
	v_fma_f16 v47, v22, s8, v47
	v_add_f16_e32 v23, v12, v23
	v_add_f16_e32 v21, v47, v21
	v_mul_f16_e32 v47, 0x3770, v27
	v_add_f16_e32 v24, v12, v24
	v_add_f16_e32 v23, v48, v23
	v_fma_f16 v48, v22, s14, -v47
	v_add_f16_e32 v24, v48, v24
	v_fma_f16 v47, v22, s14, v47
	v_sub_f16_e32 v48, v39, v34
	v_add_f16_e32 v11, v47, v11
	v_add_f16_e32 v47, v38, v14
	v_mul_f16_e32 v49, 0xba95, v48
	v_fma_f16 v50, v47, s15, -v49
	v_fma_f16 v49, v47, s15, v49
	v_add_f16_e32 v21, v49, v21
	v_mul_f16_e32 v49, 0xb94e, v48
	v_add_f16_e32 v23, v50, v23
	v_fma_f16 v50, v47, s12, -v49
	v_add_f16_e32 v24, v50, v24
	v_fma_f16 v49, v47, s12, v49
	v_sub_f16_e32 v50, v37, v33
	v_add_f16_e32 v11, v49, v11
	v_add_f16_e32 v49, v36, v15
	v_mul_f16_e32 v51, 0x33a8, v50
	v_fma_f16 v52, v49, s9, -v51
	v_fma_f16 v51, v49, s9, v51
	v_add_f16_e32 v21, v51, v21
	v_mul_f16_e32 v51, 0x3a95, v50
	;; [unrolled: 12-line block ×3, first 2 shown]
	v_add_f16_e32 v23, v54, v23
	v_fma_f16 v54, v51, s13, -v53
	v_fma_f16 v53, v51, s13, v53
	v_add_f16_e32 v53, v53, v11
	v_pk_mul_f16 v11, v20, s21 op_sel_hi:[0,1]
	v_pk_fma_f16 v56, v13, s18, v11 op_sel_hi:[0,1,1] neg_lo:[0,0,1] neg_hi:[0,0,1]
	v_pk_fma_f16 v11, v13, s18, v11 op_sel_hi:[0,1,1]
	v_pk_mul_f16 v58, v27, s23 op_sel_hi:[0,1]
	v_pk_add_f16 v11, v12, v11 op_sel_hi:[0,1]
	v_pk_fma_f16 v59, v22, s19, v58 op_sel_hi:[0,1,1] neg_lo:[0,0,1] neg_hi:[0,0,1]
	v_pk_fma_f16 v58, v22, s19, v58 op_sel_hi:[0,1,1]
	v_add_f16_sdwa v57, v12, v56 dst_sel:DWORD dst_unused:UNUSED_PAD src0_sel:DWORD src1_sel:WORD_1
	v_add_f16_e32 v56, v12, v56
	v_pk_add_f16 v11, v58, v11
	v_pk_mul_f16 v58, v48, s25 op_sel_hi:[0,1]
	v_add_f16_sdwa v57, v59, v57 dst_sel:DWORD dst_unused:UNUSED_PAD src0_sel:WORD_1 src1_sel:DWORD
	v_add_f16_e32 v56, v59, v56
	v_pk_fma_f16 v59, v47, s20, v58 op_sel_hi:[0,1,1] neg_lo:[0,0,1] neg_hi:[0,0,1]
	v_pk_fma_f16 v58, v47, s20, v58 op_sel_hi:[0,1,1]
	v_pk_add_f16 v11, v58, v11
	v_pk_mul_f16 v58, v50, s26 op_sel_hi:[0,1]
	v_add_f16_sdwa v57, v59, v57 dst_sel:DWORD dst_unused:UNUSED_PAD src0_sel:WORD_1 src1_sel:DWORD
	v_add_f16_e32 v56, v59, v56
	v_pk_fma_f16 v59, v49, s22, v58 op_sel_hi:[0,1,1] neg_lo:[0,0,1] neg_hi:[0,0,1]
	v_pk_fma_f16 v58, v49, s22, v58 op_sel_hi:[0,1,1]
	v_pk_add_f16 v11, v58, v11
	v_pk_mul_f16 v58, v52, s29 op_sel_hi:[0,1]
	v_sub_f16_e32 v55, v19, v29
	v_add_f16_sdwa v57, v59, v57 dst_sel:DWORD dst_unused:UNUSED_PAD src0_sel:WORD_1 src1_sel:DWORD
	v_add_f16_e32 v56, v59, v56
	v_pk_fma_f16 v59, v51, s24, v58 op_sel_hi:[0,1,1] neg_lo:[0,0,1] neg_hi:[0,0,1]
	v_pk_fma_f16 v58, v51, s24, v58 op_sel_hi:[0,1,1]
	v_add_f16_e32 v24, v54, v24
	v_add_f16_e32 v54, v18, v28
	v_pk_add_f16 v11, v58, v11
	v_pk_mul_f16 v58, v55, s31 op_sel_hi:[0,1]
	v_add_f16_sdwa v57, v59, v57 dst_sel:DWORD dst_unused:UNUSED_PAD src0_sel:WORD_1 src1_sel:DWORD
	v_add_f16_e32 v56, v59, v56
	v_pk_fma_f16 v59, v54, s27, v58 op_sel_hi:[0,1,1] neg_lo:[0,0,1] neg_hi:[0,0,1]
	v_pk_fma_f16 v58, v54, s27, v58 op_sel_hi:[0,1,1]
	v_pk_mul_f16 v20, v20, s34 op_sel_hi:[0,1]
	v_pk_add_f16 v11, v58, v11
	v_pk_fma_f16 v58, v13, s28, v20 op_sel_hi:[0,1,1] neg_lo:[0,0,1] neg_hi:[0,0,1]
	v_pk_fma_f16 v13, v13, s28, v20 op_sel_hi:[0,1,1]
	v_add_f16_sdwa v57, v59, v57 dst_sel:DWORD dst_unused:UNUSED_PAD src0_sel:WORD_1 src1_sel:DWORD
	v_add_f16_e32 v56, v59, v56
	v_add_f16_e32 v59, v12, v58
	v_add_f16_sdwa v58, v12, v58 dst_sel:DWORD dst_unused:UNUSED_PAD src0_sel:DWORD src1_sel:WORD_1
	v_pk_add_f16 v12, v12, v13 op_sel_hi:[0,1]
	v_pk_mul_f16 v13, v27, s36 op_sel_hi:[0,1]
	v_pk_fma_f16 v20, v22, s30, v13 op_sel_hi:[0,1,1] neg_lo:[0,0,1] neg_hi:[0,0,1]
	v_pk_fma_f16 v13, v22, s30, v13 op_sel_hi:[0,1,1]
	v_pk_add_f16 v12, v13, v12
	v_pk_mul_f16 v13, v48, s38 op_sel_hi:[0,1]
	v_pk_fma_f16 v22, v47, s33, v13 op_sel_hi:[0,1,1] neg_lo:[0,0,1] neg_hi:[0,0,1]
	v_pk_fma_f16 v13, v47, s33, v13 op_sel_hi:[0,1,1]
	v_add_f16_e32 v27, v20, v59
	v_add_f16_sdwa v20, v20, v58 dst_sel:DWORD dst_unused:UNUSED_PAD src0_sel:WORD_1 src1_sel:DWORD
	v_pk_add_f16 v12, v13, v12
	v_pk_mul_f16 v13, v50, s39 op_sel_hi:[0,1]
	v_add_f16_e32 v27, v22, v27
	v_add_f16_sdwa v20, v22, v20 dst_sel:DWORD dst_unused:UNUSED_PAD src0_sel:WORD_1 src1_sel:DWORD
	v_pk_fma_f16 v22, v49, s35, v13 op_sel_hi:[0,1,1] neg_lo:[0,0,1] neg_hi:[0,0,1]
	v_pk_fma_f16 v13, v49, s35, v13 op_sel_hi:[0,1,1]
	v_pk_add_f16 v12, v13, v12
	v_pk_mul_f16 v13, v52, s41 op_sel_hi:[0,1]
	v_add_f16_e32 v27, v22, v27
	v_add_f16_sdwa v20, v22, v20 dst_sel:DWORD dst_unused:UNUSED_PAD src0_sel:WORD_1 src1_sel:DWORD
	v_pk_fma_f16 v22, v51, s37, v13 op_sel_hi:[0,1,1] neg_lo:[0,0,1] neg_hi:[0,0,1]
	v_pk_fma_f16 v13, v51, s37, v13 op_sel_hi:[0,1,1]
	;; [unrolled: 6-line block ×3, first 2 shown]
	v_pk_add_f16 v12, v13, v12
	v_mul_f16_e32 v13, 0xbb7b, v55
	v_add_f16_e32 v27, v22, v27
	v_add_f16_sdwa v20, v22, v20 dst_sel:DWORD dst_unused:UNUSED_PAD src0_sel:WORD_1 src1_sel:DWORD
	v_fma_f16 v22, v54, s13, -v13
	v_fma_f16 v13, v54, s13, v13
	v_add_f16_e32 v13, v13, v21
	v_mul_f16_e32 v21, 0x3bf1, v55
	v_add_f16_e32 v22, v22, v23
	v_fma_f16 v23, v54, s8, -v21
	v_add_f16_e32 v23, v23, v24
	v_mov_b32_e32 v24, 1
	v_fma_f16 v21, v54, s8, v21
	v_lshlrev_b32_sdwa v24, v24, v26 dst_sel:DWORD dst_unused:UNUSED_PAD src0_sel:DWORD src1_sel:BYTE_0
	v_add_f16_e32 v21, v21, v53
	v_add3_u32 v47, 0, v16, v24
	ds_write_b16 v47, v25
	ds_write_b16 v47, v57 offset:34
	ds_write_b16 v47, v56 offset:68
	ds_write_b16 v47, v27 offset:102
	ds_write_b16 v47, v20 offset:136
	ds_write_b16 v47, v22 offset:170
	ds_write_b16 v47, v23 offset:204
	ds_write_b16 v47, v21 offset:238
	ds_write_b16 v47, v13 offset:272
	ds_write_b16_d16_hi v47, v12 offset:306
	ds_write_b16 v47, v12 offset:340
	ds_write_b16 v47, v11 offset:374
	ds_write_b16_d16_hi v47, v11 offset:408
	s_waitcnt lgkmcnt(0)
	s_barrier
	ds_read_u16 v16, v8
	ds_read_u16 v20, v8 offset:442
	ds_read_u16 v22, v8 offset:884
	;; [unrolled: 1-line block ×8, first 2 shown]
                                        ; implicit-def: $vgpr13
	s_and_saveexec_b64 s[6:7], s[0:1]
	s_cbranch_execz .LBB0_17
; %bb.16:
	ds_read_u16 v0, v8 offset:2074
	ds_read_u16 v1, v8 offset:2516
	;; [unrolled: 1-line block ×9, first 2 shown]
	s_mov_b32 s43, 0x5040100
	s_waitcnt lgkmcnt(7)
	v_perm_b32 v0, v1, v0, s43
	s_waitcnt lgkmcnt(5)
	v_perm_b32 v1, v12, v11, s43
	;; [unrolled: 2-line block ×4, first 2 shown]
.LBB0_17:
	s_or_b64 exec, exec, s[6:7]
	v_add_f16_e32 v48, v9, v43
	v_add_f16_e32 v48, v48, v41
	;; [unrolled: 1-line block ×10, first 2 shown]
	v_sub_f16_e32 v42, v42, v45
	v_add_f16_e32 v48, v48, v44
	v_add_f16_e32 v43, v43, v46
	v_mul_f16_e32 v45, 0xb94e, v42
	v_sub_f16_e32 v35, v40, v35
	v_add_f16_e32 v48, v48, v46
	v_fma_f16 v46, v43, s12, v45
	v_fma_f16 v45, v43, s12, -v45
	v_add_f16_e32 v41, v41, v44
	v_mul_f16_e32 v40, 0x3bf1, v35
	v_sub_f16_e32 v14, v38, v14
	v_add_f16_e32 v45, v9, v45
	v_mul_f16_e32 v49, 0xb3a8, v42
	v_fma_f16 v44, v41, s8, v40
	v_fma_f16 v40, v41, s8, -v40
	v_add_f16_e32 v34, v39, v34
	v_mul_f16_e32 v38, 0xba95, v14
	v_sub_f16_e32 v36, v36, v15
	v_add_f16_e32 v46, v9, v46
	v_fma_f16 v50, v43, s9, v49
	v_fma_f16 v49, v43, s9, -v49
	v_add_f16_e32 v40, v40, v45
	v_mul_f16_e32 v45, 0x3770, v35
	v_fma_f16 v39, v34, s15, v38
	v_fma_f16 v38, v34, s15, -v38
	v_add_f16_e32 v33, v37, v33
	v_mul_f16_e32 v15, 0x33a8, v36
	v_sub_f16_e32 v17, v30, v17
	v_add_f16_e32 v49, v9, v49
	v_add_f16_e32 v44, v44, v46
	v_fma_f16 v46, v41, s14, v45
	v_fma_f16 v45, v41, s14, -v45
	v_add_f16_e32 v38, v38, v40
	v_mul_f16_e32 v40, 0xb94e, v14
	v_fma_f16 v37, v33, s9, v15
	v_fma_f16 v15, v33, s9, -v15
	v_add_f16_e32 v31, v31, v32
	v_mul_f16_e32 v30, 0x3770, v17
	v_add_f16_e32 v50, v9, v50
	v_add_f16_e32 v45, v45, v49
	;; [unrolled: 1-line block ×3, first 2 shown]
	v_fma_f16 v44, v34, s12, v40
	v_fma_f16 v40, v34, s12, -v40
	v_add_f16_e32 v15, v15, v38
	v_mul_f16_e32 v38, 0x3a95, v36
	v_fma_f16 v32, v31, s14, v30
	v_fma_f16 v30, v31, s14, -v30
	v_add_f16_e32 v46, v46, v50
	v_add_f16_e32 v40, v40, v45
	;; [unrolled: 1-line block ×3, first 2 shown]
	v_fma_f16 v39, v33, s15, v38
	v_fma_f16 v38, v33, s15, -v38
	v_add_f16_e32 v30, v30, v15
	v_mul_f16_e32 v15, 0xbb7b, v17
	v_add_f16_e32 v44, v44, v46
	v_add_f16_e32 v38, v38, v40
	;; [unrolled: 1-line block ×3, first 2 shown]
	v_fma_f16 v37, v31, s13, v15
	v_fma_f16 v15, v31, s13, -v15
	v_add_f16_e32 v39, v39, v44
	v_add_f16_e32 v38, v15, v38
	v_pk_mul_f16 v15, v42, s21 op_sel_hi:[0,1]
	v_add_f16_e32 v37, v37, v39
	v_sub_f16_e32 v18, v18, v28
	v_pk_fma_f16 v28, v43, s18, v15 op_sel_hi:[0,1,1]
	v_pk_fma_f16 v15, v43, s18, v15 op_sel_hi:[0,1,1] neg_lo:[0,0,1] neg_hi:[0,0,1]
	v_pk_mul_f16 v39, v35, s23 op_sel_hi:[0,1]
	v_pk_add_f16 v15, v9, v15 op_sel_hi:[0,1]
	v_pk_fma_f16 v40, v41, s19, v39 op_sel_hi:[0,1,1]
	v_pk_fma_f16 v39, v41, s19, v39 op_sel_hi:[0,1,1] neg_lo:[0,0,1] neg_hi:[0,0,1]
	v_add_f16_e32 v19, v19, v29
	v_add_f16_sdwa v29, v9, v28 dst_sel:DWORD dst_unused:UNUSED_PAD src0_sel:DWORD src1_sel:WORD_1
	v_add_f16_e32 v28, v9, v28
	v_pk_add_f16 v15, v39, v15
	v_pk_mul_f16 v39, v14, s25 op_sel_hi:[0,1]
	v_add_f16_sdwa v29, v40, v29 dst_sel:DWORD dst_unused:UNUSED_PAD src0_sel:WORD_1 src1_sel:DWORD
	v_add_f16_e32 v28, v40, v28
	v_pk_fma_f16 v40, v34, s20, v39 op_sel_hi:[0,1,1]
	v_pk_fma_f16 v39, v34, s20, v39 op_sel_hi:[0,1,1] neg_lo:[0,0,1] neg_hi:[0,0,1]
	v_pk_add_f16 v15, v39, v15
	v_pk_mul_f16 v39, v36, s26 op_sel_hi:[0,1]
	v_add_f16_sdwa v29, v40, v29 dst_sel:DWORD dst_unused:UNUSED_PAD src0_sel:WORD_1 src1_sel:DWORD
	v_add_f16_e32 v28, v40, v28
	v_pk_fma_f16 v40, v33, s22, v39 op_sel_hi:[0,1,1]
	v_pk_fma_f16 v39, v33, s22, v39 op_sel_hi:[0,1,1] neg_lo:[0,0,1] neg_hi:[0,0,1]
	;; [unrolled: 6-line block ×5, first 2 shown]
	v_pk_mul_f16 v35, v35, s36 op_sel_hi:[0,1]
	v_add_f16_e32 v42, v9, v40
	v_add_f16_sdwa v40, v9, v40 dst_sel:DWORD dst_unused:UNUSED_PAD src0_sel:DWORD src1_sel:WORD_1
	v_pk_add_f16 v9, v9, v39 op_sel_hi:[0,1]
	v_pk_fma_f16 v39, v41, s30, v35 op_sel_hi:[0,1,1]
	v_pk_fma_f16 v35, v41, s30, v35 op_sel_hi:[0,1,1] neg_lo:[0,0,1] neg_hi:[0,0,1]
	v_pk_mul_f16 v14, v14, s38 op_sel_hi:[0,1]
	v_pk_add_f16 v9, v35, v9
	v_pk_fma_f16 v35, v34, s33, v14 op_sel_hi:[0,1,1]
	v_pk_fma_f16 v14, v34, s33, v14 op_sel_hi:[0,1,1] neg_lo:[0,0,1] neg_hi:[0,0,1]
	v_pk_add_f16 v9, v14, v9
	v_pk_mul_f16 v14, v36, s39 op_sel_hi:[0,1]
	v_pk_fma_f16 v34, v33, s35, v14 op_sel_hi:[0,1,1]
	v_pk_fma_f16 v14, v33, s35, v14 op_sel_hi:[0,1,1] neg_lo:[0,0,1] neg_hi:[0,0,1]
	v_add_f16_e32 v42, v39, v42
	v_add_f16_sdwa v39, v39, v40 dst_sel:DWORD dst_unused:UNUSED_PAD src0_sel:WORD_1 src1_sel:DWORD
	v_pk_add_f16 v9, v14, v9
	v_pk_mul_f16 v14, v17, s41 op_sel_hi:[0,1]
	v_add_f16_e32 v40, v35, v42
	v_add_f16_sdwa v35, v35, v39 dst_sel:DWORD dst_unused:UNUSED_PAD src0_sel:WORD_1 src1_sel:DWORD
	v_pk_fma_f16 v17, v31, s37, v14 op_sel_hi:[0,1,1]
	v_pk_fma_f16 v14, v31, s37, v14 op_sel_hi:[0,1,1] neg_lo:[0,0,1] neg_hi:[0,0,1]
	v_add_f16_e32 v36, v34, v40
	v_add_f16_sdwa v34, v34, v35 dst_sel:DWORD dst_unused:UNUSED_PAD src0_sel:WORD_1 src1_sel:DWORD
	v_pk_add_f16 v9, v14, v9
	v_pk_mul_f16 v14, v18, s42 op_sel_hi:[0,1]
	v_add_f16_e32 v33, v17, v36
	v_add_f16_sdwa v17, v17, v34 dst_sel:DWORD dst_unused:UNUSED_PAD src0_sel:WORD_1 src1_sel:DWORD
	v_pk_fma_f16 v31, v19, s40, v14 op_sel_hi:[0,1,1]
	v_pk_fma_f16 v14, v19, s40, v14 op_sel_hi:[0,1,1] neg_lo:[0,0,1] neg_hi:[0,0,1]
	v_add_f16_e32 v33, v31, v33
	v_add_f16_sdwa v31, v31, v17 dst_sel:DWORD dst_unused:UNUSED_PAD src0_sel:WORD_1 src1_sel:DWORD
	v_pk_add_f16 v17, v14, v9
	v_mul_f16_e32 v9, 0xbb7b, v18
	v_fma_f16 v14, v19, s13, v9
	v_fma_f16 v9, v19, s13, -v9
	v_mul_f16_e32 v18, 0x3bf1, v18
	v_add_f16_e32 v9, v9, v30
	v_fma_f16 v30, v19, s8, v18
	v_fma_f16 v18, v19, s8, -v18
	v_add_f16_e32 v14, v14, v32
	v_add_f16_e32 v18, v18, v38
	v_add_f16_e32 v30, v30, v37
	s_waitcnt lgkmcnt(0)
	s_barrier
	ds_write_b16 v47, v48
	ds_write_b16 v47, v29 offset:34
	ds_write_b16 v47, v28 offset:68
	;; [unrolled: 1-line block ×8, first 2 shown]
	v_lshrrev_b32_e32 v14, 16, v17
	v_lshrrev_b32_e32 v18, 16, v15
	ds_write_b16 v47, v14 offset:306
	ds_write_b16 v47, v17 offset:340
	;; [unrolled: 1-line block ×4, first 2 shown]
	s_waitcnt lgkmcnt(0)
	s_barrier
	ds_read_u16 v28, v8
	ds_read_u16 v32, v8 offset:442
	ds_read_u16 v29, v8 offset:884
	;; [unrolled: 1-line block ×8, first 2 shown]
                                        ; implicit-def: $vgpr19
	s_and_saveexec_b64 s[6:7], s[0:1]
	s_cbranch_execz .LBB0_19
; %bb.18:
	ds_read_u16 v14, v8 offset:306
	ds_read_u16 v17, v8 offset:748
	;; [unrolled: 1-line block ×9, first 2 shown]
	s_mov_b32 s8, 0x5040100
	s_waitcnt lgkmcnt(3)
	v_perm_b32 v6, v7, v6, s8
	s_waitcnt lgkmcnt(1)
	v_perm_b32 v7, v37, v9, s8
.LBB0_19:
	s_or_b64 exec, exec, s[6:7]
	s_and_saveexec_b64 s[6:7], vcc
	s_cbranch_execz .LBB0_22
; %bb.20:
	v_lshlrev_b32_e32 v8, 3, v10
	v_mov_b32_e32 v9, 0
	v_lshl_add_u64 v[46:47], v[8:9], 2, s[4:5]
	global_load_dwordx4 v[38:41], v[46:47], off offset:816
	global_load_dwordx4 v[42:45], v[46:47], off offset:832
	v_mul_lo_u32 v8, s3, v4
	v_mul_lo_u32 v37, s2, v5
	v_mad_u64_u32 v[4:5], s[2:3], s2, v4, 0
	v_add3_u32 v5, v5, v37, v8
	s_movk_i32 s7, 0x3a21
	s_mov_b32 s2, 0xb924
	s_movk_i32 s8, 0x318f
	s_movk_i32 s3, 0x3aee
	s_movk_i32 s6, 0x3579
	s_mov_b32 s9, 0xbb84
	s_movk_i32 s12, 0x3be1
	s_mov_b32 s13, 0xbaee
	s_movk_i32 s14, 0x3924
	v_lshl_add_u64 v[4:5], v[4:5], 2, s[10:11]
	v_lshl_add_u64 v[2:3], v[2:3], 2, v[4:5]
	s_waitcnt vmcnt(1)
	v_mul_f16_sdwa v48, v22, v39 dst_sel:DWORD dst_unused:UNUSED_PAD src0_sel:DWORD src1_sel:WORD_1
	s_waitcnt vmcnt(0)
	v_mul_f16_sdwa v49, v27, v44 dst_sel:DWORD dst_unused:UNUSED_PAD src0_sel:DWORD src1_sel:WORD_1
	v_mul_f16_sdwa v50, v25, v41 dst_sel:DWORD dst_unused:UNUSED_PAD src0_sel:DWORD src1_sel:WORD_1
	;; [unrolled: 1-line block ×3, first 2 shown]
	s_waitcnt lgkmcnt(3)
	v_mul_f16_sdwa v52, v31, v42 dst_sel:DWORD dst_unused:UNUSED_PAD src0_sel:DWORD src1_sel:WORD_1
	v_mul_f16_sdwa v53, v30, v41 dst_sel:DWORD dst_unused:UNUSED_PAD src0_sel:DWORD src1_sel:WORD_1
	s_waitcnt lgkmcnt(1)
	v_mul_f16_sdwa v54, v34, v44 dst_sel:DWORD dst_unused:UNUSED_PAD src0_sel:DWORD src1_sel:WORD_1
	v_mul_f16_sdwa v55, v29, v39 dst_sel:DWORD dst_unused:UNUSED_PAD src0_sel:DWORD src1_sel:WORD_1
	;; [unrolled: 1-line block ×4, first 2 shown]
	s_waitcnt lgkmcnt(0)
	v_mul_f16_sdwa v58, v36, v45 dst_sel:DWORD dst_unused:UNUSED_PAD src0_sel:DWORD src1_sel:WORD_1
	v_mul_f16_sdwa v59, v32, v38 dst_sel:DWORD dst_unused:UNUSED_PAD src0_sel:DWORD src1_sel:WORD_1
	v_mul_f16_sdwa v8, v20, v38 dst_sel:DWORD dst_unused:UNUSED_PAD src0_sel:DWORD src1_sel:WORD_1
	v_mul_f16_sdwa v37, v24, v45 dst_sel:DWORD dst_unused:UNUSED_PAD src0_sel:DWORD src1_sel:WORD_1
	v_mul_f16_sdwa v46, v21, v40 dst_sel:DWORD dst_unused:UNUSED_PAD src0_sel:DWORD src1_sel:WORD_1
	v_mul_f16_sdwa v47, v23, v43 dst_sel:DWORD dst_unused:UNUSED_PAD src0_sel:DWORD src1_sel:WORD_1
	v_fma_f16 v29, v29, v39, v48
	v_fma_f16 v34, v34, v44, v49
	;; [unrolled: 1-line block ×4, first 2 shown]
	v_fma_f16 v26, v26, v42, -v52
	v_fma_f16 v25, v25, v41, -v53
	;; [unrolled: 1-line block ×8, first 2 shown]
	v_fma_f16 v8, v32, v38, v8
	v_fma_f16 v32, v36, v45, v37
	;; [unrolled: 1-line block ×4, first 2 shown]
	v_sub_f16_e32 v39, v30, v31
	v_add_f16_e32 v41, v22, v27
	v_add_f16_e32 v42, v21, v23
	v_add_f16_e32 v43, v20, v24
	v_sub_f16_e32 v20, v20, v24
	v_sub_f16_e32 v21, v21, v23
	;; [unrolled: 1-line block ×3, first 2 shown]
	v_add_f16_e32 v24, v29, v34
	v_sub_f16_e32 v36, v8, v32
	v_sub_f16_e32 v37, v33, v35
	;; [unrolled: 1-line block ×3, first 2 shown]
	v_add_f16_e32 v40, v25, v26
	v_sub_f16_e32 v22, v22, v27
	v_add_f16_e32 v27, v30, v31
	v_add_f16_e32 v29, v33, v35
	;; [unrolled: 1-line block ×3, first 2 shown]
	v_mul_f16_e32 v32, 0x3be1, v39
	v_fma_f16 v33, v41, s7, v16
	v_mul_f16_e32 v34, 0x3be1, v23
	v_fma_f16 v35, v24, s7, v28
	v_add_f16_e32 v44, v8, v24
	v_fma_f16 v32, v38, s2, -v32
	v_fma_f16 v33, v40, s8, v33
	v_fma_f16 v34, v22, s2, -v34
	v_fma_f16 v35, v27, s8, v35
	v_add_f16_e32 v46, v29, v44
	v_fma_f16 v32, v37, s3, v32
	v_fma_f16 v33, v42, -0.5, v33
	v_fma_f16 v34, v21, s3, v34
	v_fma_f16 v35, v29, -0.5, v35
	v_add_f16_e32 v45, v43, v41
	v_add_f16_e32 v30, v30, v46
	v_fma_f16 v32, v36, s6, v32
	v_fma_f16 v33, v43, s9, v33
	v_fma_f16 v34, v20, s6, v34
	v_fma_f16 v35, v8, s9, v35
	v_add_f16_e32 v30, v31, v30
	v_add_f16_e32 v31, v32, v33
	v_sub_f16_e32 v33, v35, v34
	v_add_f16_e32 v35, v42, v45
	v_add_f16_e32 v25, v25, v35
	;; [unrolled: 1-line block ×6, first 2 shown]
	v_sub_f16_e32 v26, v26, v38
	v_fma_f16 v45, v45, -0.5, v46
	v_mul_f16_e32 v35, 0x3aee, v26
	v_fma_f16 v26, v26, s3, v45
	v_add_f16_e32 v45, v28, v29
	v_add_f16_e32 v44, v44, v27
	v_mul_f16_e32 v49, 0xb924, v23
	v_fma_f16 v44, v44, -0.5, v45
	v_add_f16_e32 v45, v20, v23
	v_fma_f16 v49, v20, s12, v49
	v_sub_f16_e32 v45, v45, v22
	v_fma_f16 v48, v27, s7, v28
	v_fma_f16 v49, v21, s13, v49
	v_mul_f16_e32 v46, 0x3aee, v45
	v_fma_f16 v44, v45, s13, v44
	v_fma_f16 v48, v8, s8, v48
	;; [unrolled: 1-line block ×3, first 2 shown]
	v_mul_f16_e32 v22, 0x3be1, v22
	v_fma_f16 v8, v8, s7, v28
	v_fma_f16 v45, v46, 2.0, v44
	v_mul_f16_e32 v46, 0xb924, v39
	v_fma_f16 v20, v20, s14, v22
	v_fma_f16 v8, v24, s8, v8
	;; [unrolled: 1-line block ×4, first 2 shown]
	v_fma_f16 v8, v29, -0.5, v8
	v_fma_f16 v46, v37, s13, v46
	v_fma_f16 v48, v29, -0.5, v48
	v_fma_f16 v20, v23, s6, v20
	v_fma_f16 v8, v27, s9, v8
	v_fma_f16 v46, v38, s6, v46
	v_fma_f16 v48, v24, s9, v48
	v_mul_f16_e32 v38, 0x3be1, v38
	v_sub_f16_e32 v24, v8, v20
	v_fma_f16 v36, v36, s14, v38
	v_fma_f16 v27, v20, 2.0, v24
	v_mad_u64_u32 v[20:21], s[14:15], s16, v10, 0
	v_mov_b32_e32 v8, v21
	v_mad_u64_u32 v[22:23], s[14:15], s17, v10, v[8:9]
	v_add_f16_e32 v30, v28, v30
	v_add_f16_e32 v25, v16, v25
	v_mov_b32_e32 v21, v22
	v_fma_f16 v47, v40, s7, v16
	v_fma_f16 v16, v43, s7, v16
	v_lshl_add_u64 v[4:5], v[20:21], 2, v[2:3]
	v_pack_b32_f16 v8, v25, v30
	v_add_u32_e32 v20, 0xdd, v10
	v_fma_f16 v16, v41, s8, v16
	global_store_dword v[4:5], v8, off
	v_mad_u64_u32 v[4:5], s[10:11], s16, v20, 0
	v_fma_f16 v36, v37, s3, v36
	v_fma_f16 v16, v42, -0.5, v16
	v_mov_b32_e32 v8, v5
	v_fma_f16 v36, v39, s6, v36
	v_fma_f16 v16, v40, s9, v16
	v_mad_u64_u32 v[20:21], s[10:11], s17, v20, v[8:9]
	v_add_f16_e32 v16, v36, v16
	v_mov_b32_e32 v5, v20
	v_fma_f16 v36, v36, -2.0, v16
	v_lshl_add_u64 v[4:5], v[4:5], 2, v[2:3]
	v_pack_b32_f16 v8, v16, v24
	v_add_u32_e32 v16, 0x1ba, v10
	v_fma_f16 v47, v43, s8, v47
	global_store_dword v[4:5], v8, off
	v_mad_u64_u32 v[4:5], s[10:11], s16, v16, 0
	v_fma_f16 v47, v42, -0.5, v47
	v_mov_b32_e32 v8, v5
	v_fma_f16 v47, v41, s9, v47
	v_mad_u64_u32 v[20:21], s[10:11], s17, v16, v[8:9]
	v_add_f16_e32 v47, v46, v47
	v_sub_f16_e32 v48, v48, v49
	v_mov_b32_e32 v5, v20
	v_lshl_add_u64 v[4:5], v[4:5], 2, v[2:3]
	v_pack_b32_f16 v8, v47, v48
	v_add_u32_e32 v16, 0x297, v10
	global_store_dword v[4:5], v8, off
	v_mad_u64_u32 v[4:5], s[10:11], s16, v16, 0
	v_mov_b32_e32 v8, v5
	v_mad_u64_u32 v[20:21], s[10:11], s17, v16, v[8:9]
	v_mov_b32_e32 v5, v20
	v_lshl_add_u64 v[4:5], v[4:5], 2, v[2:3]
	v_pack_b32_f16 v8, v26, v44
	v_add_u32_e32 v16, 0x374, v10
	global_store_dword v[4:5], v8, off
	v_mad_u64_u32 v[4:5], s[10:11], s16, v16, 0
	v_mov_b32_e32 v8, v5
	v_mad_u64_u32 v[20:21], s[10:11], s17, v16, v[8:9]
	;; [unrolled: 8-line block ×3, first 2 shown]
	v_fma_f16 v32, v32, -2.0, v31
	v_fma_f16 v34, v34, 2.0, v33
	v_mov_b32_e32 v5, v20
	v_lshl_add_u64 v[4:5], v[4:5], 2, v[2:3]
	v_pack_b32_f16 v8, v32, v34
	v_add_u32_e32 v16, 0x52e, v10
	global_store_dword v[4:5], v8, off
	v_mad_u64_u32 v[4:5], s[10:11], s16, v16, 0
	v_mov_b32_e32 v8, v5
	v_mad_u64_u32 v[20:21], s[10:11], s17, v16, v[8:9]
	v_fma_f16 v35, v35, -2.0, v26
	v_mov_b32_e32 v5, v20
	v_lshl_add_u64 v[4:5], v[4:5], 2, v[2:3]
	v_pack_b32_f16 v8, v35, v45
	v_add_u32_e32 v16, 0x60b, v10
	global_store_dword v[4:5], v8, off
	v_mad_u64_u32 v[4:5], s[10:11], s16, v16, 0
	v_mov_b32_e32 v8, v5
	v_mad_u64_u32 v[20:21], s[10:11], s17, v16, v[8:9]
	v_fma_f16 v46, v46, -2.0, v47
	v_fma_f16 v49, v49, 2.0, v48
	v_mov_b32_e32 v5, v20
	v_lshl_add_u64 v[4:5], v[4:5], 2, v[2:3]
	v_pack_b32_f16 v8, v46, v49
	v_add_u32_e32 v16, 0x6e8, v10
	global_store_dword v[4:5], v8, off
	v_mad_u64_u32 v[4:5], s[10:11], s16, v16, 0
	v_mov_b32_e32 v8, v5
	v_mad_u64_u32 v[20:21], s[10:11], s17, v16, v[8:9]
	v_mov_b32_e32 v5, v20
	v_lshl_add_u64 v[4:5], v[4:5], 2, v[2:3]
	v_pack_b32_f16 v8, v36, v27
	global_store_dword v[4:5], v8, off
	s_and_b64 exec, exec, s[0:1]
	s_cbranch_execz .LBB0_22
; %bb.21:
	v_add_u32_e32 v16, 0x99, v10
	v_add_u32_e32 v4, 0xffffffbc, v10
	v_cndmask_b32_e64 v4, v4, v16, s[0:1]
	v_lshlrev_b32_e32 v8, 3, v4
	v_lshl_add_u64 v[4:5], v[8:9], 2, s[4:5]
	global_load_dwordx4 v[20:23], v[4:5], off offset:816
	global_load_dwordx4 v[24:27], v[4:5], off offset:832
	v_lshrrev_b32_e32 v4, 16, v11
	v_lshrrev_b32_e32 v8, 16, v6
	;; [unrolled: 1-line block ×6, first 2 shown]
	s_waitcnt vmcnt(1)
	v_mul_f16_sdwa v30, v17, v20 dst_sel:DWORD dst_unused:UNUSED_PAD src0_sel:DWORD src1_sel:WORD_1
	v_mul_f16_sdwa v31, v12, v20 dst_sel:DWORD dst_unused:UNUSED_PAD src0_sel:DWORD src1_sel:WORD_1
	s_waitcnt vmcnt(0)
	v_mul_f16_sdwa v44, v19, v27 dst_sel:DWORD dst_unused:UNUSED_PAD src0_sel:DWORD src1_sel:WORD_1
	v_mul_f16_sdwa v45, v13, v27 dst_sel:DWORD dst_unused:UNUSED_PAD src0_sel:DWORD src1_sel:WORD_1
	;; [unrolled: 1-line block ×12, first 2 shown]
	v_fma_f16 v12, v12, v20, -v30
	v_fma_f16 v17, v17, v20, v31
	v_fma_f16 v13, v13, v27, -v44
	v_fma_f16 v19, v19, v27, v45
	v_mul_f16_sdwa v37, v0, v23 dst_sel:DWORD dst_unused:UNUSED_PAD src0_sel:DWORD src1_sel:WORD_1
	v_mul_f16_sdwa v39, v5, v24 dst_sel:DWORD dst_unused:UNUSED_PAD src0_sel:DWORD src1_sel:WORD_1
	v_fma_f16 v11, v11, v21, -v32
	v_fma_f16 v15, v15, v21, v33
	v_fma_f16 v4, v4, v22, -v34
	v_fma_f16 v18, v18, v22, v35
	v_fma_f16 v0, v0, v23, -v36
	v_fma_f16 v5, v5, v24, -v38
	;; [unrolled: 1-line block ×3, first 2 shown]
	v_fma_f16 v7, v7, v25, v41
	v_fma_f16 v9, v9, v26, -v42
	v_fma_f16 v20, v28, v26, v43
	v_add_f16_e32 v21, v12, v13
	v_sub_f16_e32 v12, v12, v13
	v_sub_f16_e32 v13, v17, v19
	v_fma_f16 v6, v6, v23, v37
	v_fma_f16 v8, v8, v24, v39
	v_add_f16_e32 v22, v17, v19
	v_add_f16_e32 v23, v11, v9
	;; [unrolled: 1-line block ×5, first 2 shown]
	v_sub_f16_e32 v9, v11, v9
	v_sub_f16_e32 v11, v15, v20
	;; [unrolled: 1-line block ×5, first 2 shown]
	v_mul_f16_e32 v19, 0x3924, v12
	v_mul_f16_e32 v20, 0x3924, v13
	;; [unrolled: 1-line block ×3, first 2 shown]
	v_fma_f16 v19, v9, s12, v19
	v_fma_f16 v20, v11, s12, v20
	v_sub_f16_e32 v15, v6, v8
	v_fma_f16 v30, v12, s12, v30
	v_fma_f16 v19, v1, s3, v19
	;; [unrolled: 1-line block ×3, first 2 shown]
	v_mul_f16_e32 v31, 0xb924, v15
	v_fma_f16 v30, v1, s13, v30
	v_fma_f16 v19, v7, s6, v19
	;; [unrolled: 1-line block ×3, first 2 shown]
	v_add_f16_e32 v34, v7, v12
	v_add_f16_e32 v35, v15, v13
	v_mul_f16_e32 v7, 0x3be1, v7
	v_mul_f16_e32 v15, 0x3be1, v15
	v_fma_f16 v31, v13, s12, v31
	v_fma_f16 v30, v9, s6, v30
	v_sub_f16_e32 v34, v34, v9
	v_add_f16_e32 v40, v23, v21
	v_add_f16_e32 v41, v24, v22
	v_fma_f16 v7, v9, s2, -v7
	v_fma_f16 v9, v11, s2, -v15
	v_fma_f16 v31, v4, s13, v31
	v_fma_f16 v1, v1, s3, v7
	;; [unrolled: 1-line block ×3, first 2 shown]
	v_add_f16_e32 v7, v25, v40
	v_add_f16_e32 v9, v26, v41
	v_add_f16_e32 v17, v0, v5
	v_add_f16_e32 v18, v6, v8
	v_add_f16_e32 v0, v0, v7
	v_add_f16_e32 v6, v6, v9
	v_add_f16_e32 v0, v5, v0
	v_add_f16_e32 v5, v8, v6
	v_add_f16_e32 v7, v14, v5
	v_fma_f16 v5, v24, s7, v14
	v_add_f16_e32 v6, v29, v0
	v_fma_f16 v0, v23, s7, v29
	v_fma_f16 v5, v18, s8, v5
	;; [unrolled: 1-line block ×3, first 2 shown]
	v_fma_f16 v5, v26, -0.5, v5
	v_fma_f16 v1, v12, s6, v1
	v_fma_f16 v0, v25, -0.5, v0
	v_fma_f16 v5, v22, s9, v5
	v_fma_f16 v4, v13, s6, v4
	;; [unrolled: 1-line block ×3, first 2 shown]
	v_sub_f16_e32 v9, v5, v1
	v_add_f16_e32 v8, v4, v0
	v_fma_f16 v12, v1, 2.0, v9
	v_mad_u64_u32 v[0:1], s[0:1], s16, v16, 0
	v_fma_f16 v31, v11, s6, v31
	v_sub_f16_e32 v35, v35, v11
	v_fma_f16 v11, v4, -2.0, v8
	v_mov_b32_e32 v4, v1
	v_mad_u64_u32 v[4:5], s[0:1], s17, v16, v[4:5]
	v_mov_b32_e32 v1, v4
	v_fma_f16 v27, v21, s7, v29
	v_fma_f16 v28, v22, s7, v14
	v_lshl_add_u64 v[0:1], v[0:1], 2, v[2:3]
	v_pack_b32_f16 v4, v6, v7
	v_add_u32_e32 v5, 0x176, v10
	v_fma_f16 v27, v23, s8, v27
	v_fma_f16 v28, v24, s8, v28
	global_store_dword v[0:1], v4, off
	v_mad_u64_u32 v[0:1], s[0:1], s16, v5, 0
	v_fma_f16 v27, v25, -0.5, v27
	v_fma_f16 v28, v26, -0.5, v28
	v_mov_b32_e32 v4, v1
	v_fma_f16 v27, v17, s9, v27
	v_fma_f16 v28, v18, s9, v28
	v_mad_u64_u32 v[4:5], s[0:1], s17, v5, v[4:5]
	v_add_f16_e32 v27, v20, v27
	v_sub_f16_e32 v28, v28, v19
	v_mov_b32_e32 v1, v4
	v_fma_f16 v32, v17, s7, v29
	v_fma_f16 v33, v18, s7, v14
	v_lshl_add_u64 v[0:1], v[0:1], 2, v[2:3]
	v_pack_b32_f16 v4, v27, v28
	v_add_u32_e32 v5, 0x253, v10
	v_fma_f16 v32, v21, s8, v32
	v_fma_f16 v33, v22, s8, v33
	global_store_dword v[0:1], v4, off
	v_mad_u64_u32 v[0:1], s[0:1], s16, v5, 0
	v_fma_f16 v32, v25, -0.5, v32
	v_fma_f16 v33, v26, -0.5, v33
	v_mov_b32_e32 v4, v1
	v_fma_f16 v32, v23, s9, v32
	v_fma_f16 v33, v24, s9, v33
	v_mad_u64_u32 v[4:5], s[0:1], s17, v5, v[4:5]
	v_add_f16_e32 v32, v31, v32
	v_sub_f16_e32 v33, v33, v30
	v_mov_b32_e32 v1, v4
	v_lshl_add_u64 v[0:1], v[0:1], 2, v[2:3]
	v_pack_b32_f16 v4, v32, v33
	v_add_u32_e32 v5, 0x330, v10
	global_store_dword v[0:1], v4, off
	v_mad_u64_u32 v[0:1], s[0:1], s16, v5, 0
	v_add_f16_e32 v38, v29, v25
	v_add_f16_e32 v39, v14, v26
	v_add_f16_e32 v42, v17, v40
	v_add_f16_e32 v43, v18, v41
	v_mov_b32_e32 v4, v1
	v_fma_f16 v38, v42, -0.5, v38
	v_fma_f16 v39, v43, -0.5, v39
	v_mad_u64_u32 v[4:5], s[0:1], s17, v5, v[4:5]
	v_mul_f16_e32 v36, 0x3aee, v34
	v_mul_f16_e32 v37, 0x3aee, v35
	v_fma_f16 v35, v35, s3, v38
	v_fma_f16 v34, v34, s13, v39
	v_mov_b32_e32 v1, v4
	v_lshl_add_u64 v[0:1], v[0:1], 2, v[2:3]
	v_pack_b32_f16 v4, v35, v34
	v_add_u32_e32 v5, 0x40d, v10
	global_store_dword v[0:1], v4, off
	v_mad_u64_u32 v[0:1], s[0:1], s16, v5, 0
	v_mov_b32_e32 v4, v1
	v_mad_u64_u32 v[4:5], s[0:1], s17, v5, v[4:5]
	v_mov_b32_e32 v1, v4
	v_lshl_add_u64 v[0:1], v[0:1], 2, v[2:3]
	v_pack_b32_f16 v4, v8, v9
	v_add_u32_e32 v5, 0x4ea, v10
	global_store_dword v[0:1], v4, off
	v_mad_u64_u32 v[0:1], s[0:1], s16, v5, 0
	v_mov_b32_e32 v4, v1
	v_mad_u64_u32 v[4:5], s[0:1], s17, v5, v[4:5]
	v_mov_b32_e32 v1, v4
	v_lshl_add_u64 v[0:1], v[0:1], 2, v[2:3]
	v_pack_b32_f16 v4, v11, v12
	v_add_u32_e32 v5, 0x5c7, v10
	global_store_dword v[0:1], v4, off
	v_mad_u64_u32 v[0:1], s[0:1], s16, v5, 0
	v_mov_b32_e32 v4, v1
	v_mad_u64_u32 v[4:5], s[0:1], s17, v5, v[4:5]
	v_fma_f16 v37, v37, -2.0, v35
	v_fma_f16 v36, v36, 2.0, v34
	v_mov_b32_e32 v1, v4
	v_lshl_add_u64 v[0:1], v[0:1], 2, v[2:3]
	v_pack_b32_f16 v4, v37, v36
	v_add_u32_e32 v5, 0x6a4, v10
	global_store_dword v[0:1], v4, off
	v_mad_u64_u32 v[0:1], s[0:1], s16, v5, 0
	v_mov_b32_e32 v4, v1
	v_mad_u64_u32 v[4:5], s[0:1], s17, v5, v[4:5]
	v_fma_f16 v31, v31, -2.0, v32
	v_fma_f16 v30, v30, 2.0, v33
	v_mov_b32_e32 v1, v4
	v_lshl_add_u64 v[0:1], v[0:1], 2, v[2:3]
	v_pack_b32_f16 v4, v31, v30
	v_add_u32_e32 v5, 0x781, v10
	global_store_dword v[0:1], v4, off
	v_mad_u64_u32 v[0:1], s[0:1], s16, v5, 0
	v_mov_b32_e32 v4, v1
	v_mad_u64_u32 v[4:5], s[0:1], s17, v5, v[4:5]
	v_fma_f16 v20, v20, -2.0, v27
	v_fma_f16 v19, v19, 2.0, v28
	v_mov_b32_e32 v1, v4
	v_lshl_add_u64 v[0:1], v[0:1], 2, v[2:3]
	v_pack_b32_f16 v2, v20, v19
	global_store_dword v[0:1], v2, off
.LBB0_22:
	s_endpgm
	.section	.rodata,"a",@progbits
	.p2align	6, 0x0
	.amdhsa_kernel fft_rtc_fwd_len1989_factors_17_13_9_wgs_153_tpt_153_halfLds_half_op_CI_CI_sbrr_dirReg
		.amdhsa_group_segment_fixed_size 0
		.amdhsa_private_segment_fixed_size 0
		.amdhsa_kernarg_size 104
		.amdhsa_user_sgpr_count 2
		.amdhsa_user_sgpr_dispatch_ptr 0
		.amdhsa_user_sgpr_queue_ptr 0
		.amdhsa_user_sgpr_kernarg_segment_ptr 1
		.amdhsa_user_sgpr_dispatch_id 0
		.amdhsa_user_sgpr_kernarg_preload_length 0
		.amdhsa_user_sgpr_kernarg_preload_offset 0
		.amdhsa_user_sgpr_private_segment_size 0
		.amdhsa_uses_dynamic_stack 0
		.amdhsa_enable_private_segment 0
		.amdhsa_system_sgpr_workgroup_id_x 1
		.amdhsa_system_sgpr_workgroup_id_y 0
		.amdhsa_system_sgpr_workgroup_id_z 0
		.amdhsa_system_sgpr_workgroup_info 0
		.amdhsa_system_vgpr_workitem_id 0
		.amdhsa_next_free_vgpr 117
		.amdhsa_next_free_sgpr 63
		.amdhsa_accum_offset 120
		.amdhsa_reserve_vcc 1
		.amdhsa_float_round_mode_32 0
		.amdhsa_float_round_mode_16_64 0
		.amdhsa_float_denorm_mode_32 3
		.amdhsa_float_denorm_mode_16_64 3
		.amdhsa_dx10_clamp 1
		.amdhsa_ieee_mode 1
		.amdhsa_fp16_overflow 0
		.amdhsa_tg_split 0
		.amdhsa_exception_fp_ieee_invalid_op 0
		.amdhsa_exception_fp_denorm_src 0
		.amdhsa_exception_fp_ieee_div_zero 0
		.amdhsa_exception_fp_ieee_overflow 0
		.amdhsa_exception_fp_ieee_underflow 0
		.amdhsa_exception_fp_ieee_inexact 0
		.amdhsa_exception_int_div_zero 0
	.end_amdhsa_kernel
	.text
.Lfunc_end0:
	.size	fft_rtc_fwd_len1989_factors_17_13_9_wgs_153_tpt_153_halfLds_half_op_CI_CI_sbrr_dirReg, .Lfunc_end0-fft_rtc_fwd_len1989_factors_17_13_9_wgs_153_tpt_153_halfLds_half_op_CI_CI_sbrr_dirReg
                                        ; -- End function
	.section	.AMDGPU.csdata,"",@progbits
; Kernel info:
; codeLenInByte = 13740
; NumSgprs: 69
; NumVgprs: 117
; NumAgprs: 0
; TotalNumVgprs: 117
; ScratchSize: 0
; MemoryBound: 0
; FloatMode: 240
; IeeeMode: 1
; LDSByteSize: 0 bytes/workgroup (compile time only)
; SGPRBlocks: 8
; VGPRBlocks: 14
; NumSGPRsForWavesPerEU: 69
; NumVGPRsForWavesPerEU: 117
; AccumOffset: 120
; Occupancy: 4
; WaveLimiterHint : 1
; COMPUTE_PGM_RSRC2:SCRATCH_EN: 0
; COMPUTE_PGM_RSRC2:USER_SGPR: 2
; COMPUTE_PGM_RSRC2:TRAP_HANDLER: 0
; COMPUTE_PGM_RSRC2:TGID_X_EN: 1
; COMPUTE_PGM_RSRC2:TGID_Y_EN: 0
; COMPUTE_PGM_RSRC2:TGID_Z_EN: 0
; COMPUTE_PGM_RSRC2:TIDIG_COMP_CNT: 0
; COMPUTE_PGM_RSRC3_GFX90A:ACCUM_OFFSET: 29
; COMPUTE_PGM_RSRC3_GFX90A:TG_SPLIT: 0
	.text
	.p2alignl 6, 3212836864
	.fill 256, 4, 3212836864
	.type	__hip_cuid_36e6c96107d45e3e,@object ; @__hip_cuid_36e6c96107d45e3e
	.section	.bss,"aw",@nobits
	.globl	__hip_cuid_36e6c96107d45e3e
__hip_cuid_36e6c96107d45e3e:
	.byte	0                               ; 0x0
	.size	__hip_cuid_36e6c96107d45e3e, 1

	.ident	"AMD clang version 19.0.0git (https://github.com/RadeonOpenCompute/llvm-project roc-6.4.0 25133 c7fe45cf4b819c5991fe208aaa96edf142730f1d)"
	.section	".note.GNU-stack","",@progbits
	.addrsig
	.addrsig_sym __hip_cuid_36e6c96107d45e3e
	.amdgpu_metadata
---
amdhsa.kernels:
  - .agpr_count:     0
    .args:
      - .actual_access:  read_only
        .address_space:  global
        .offset:         0
        .size:           8
        .value_kind:     global_buffer
      - .offset:         8
        .size:           8
        .value_kind:     by_value
      - .actual_access:  read_only
        .address_space:  global
        .offset:         16
        .size:           8
        .value_kind:     global_buffer
      - .actual_access:  read_only
        .address_space:  global
        .offset:         24
        .size:           8
        .value_kind:     global_buffer
      - .actual_access:  read_only
        .address_space:  global
        .offset:         32
        .size:           8
        .value_kind:     global_buffer
      - .offset:         40
        .size:           8
        .value_kind:     by_value
      - .actual_access:  read_only
        .address_space:  global
        .offset:         48
        .size:           8
        .value_kind:     global_buffer
      - .actual_access:  read_only
        .address_space:  global
        .offset:         56
        .size:           8
        .value_kind:     global_buffer
      - .offset:         64
        .size:           4
        .value_kind:     by_value
      - .actual_access:  read_only
        .address_space:  global
        .offset:         72
        .size:           8
        .value_kind:     global_buffer
      - .actual_access:  read_only
        .address_space:  global
        .offset:         80
        .size:           8
        .value_kind:     global_buffer
      - .actual_access:  read_only
        .address_space:  global
        .offset:         88
        .size:           8
        .value_kind:     global_buffer
      - .actual_access:  write_only
        .address_space:  global
        .offset:         96
        .size:           8
        .value_kind:     global_buffer
    .group_segment_fixed_size: 0
    .kernarg_segment_align: 8
    .kernarg_segment_size: 104
    .language:       OpenCL C
    .language_version:
      - 2
      - 0
    .max_flat_workgroup_size: 153
    .name:           fft_rtc_fwd_len1989_factors_17_13_9_wgs_153_tpt_153_halfLds_half_op_CI_CI_sbrr_dirReg
    .private_segment_fixed_size: 0
    .sgpr_count:     69
    .sgpr_spill_count: 0
    .symbol:         fft_rtc_fwd_len1989_factors_17_13_9_wgs_153_tpt_153_halfLds_half_op_CI_CI_sbrr_dirReg.kd
    .uniform_work_group_size: 1
    .uses_dynamic_stack: false
    .vgpr_count:     117
    .vgpr_spill_count: 0
    .wavefront_size: 64
amdhsa.target:   amdgcn-amd-amdhsa--gfx950
amdhsa.version:
  - 1
  - 2
...

	.end_amdgpu_metadata
